;; amdgpu-corpus repo=ROCm/rocFFT kind=compiled arch=gfx1030 opt=O3
	.text
	.amdgcn_target "amdgcn-amd-amdhsa--gfx1030"
	.amdhsa_code_object_version 6
	.protected	bluestein_single_back_len1275_dim1_half_op_CI_CI ; -- Begin function bluestein_single_back_len1275_dim1_half_op_CI_CI
	.globl	bluestein_single_back_len1275_dim1_half_op_CI_CI
	.p2align	8
	.type	bluestein_single_back_len1275_dim1_half_op_CI_CI,@function
bluestein_single_back_len1275_dim1_half_op_CI_CI: ; @bluestein_single_back_len1275_dim1_half_op_CI_CI
; %bb.0:
	s_load_dwordx4 s[0:3], s[4:5], 0x28
	v_mul_u32_u24_e32 v1, 0x304, v0
	v_lshrrev_b32_e32 v1, 16, v1
	v_mad_u64_u32 v[24:25], null, s6, 3, v[1:2]
	v_mov_b32_e32 v25, 0
                                        ; kill: def $vgpr2 killed $sgpr0 killed $exec
	s_waitcnt lgkmcnt(0)
	v_cmp_gt_u64_e32 vcc_lo, s[0:1], v[24:25]
	s_and_saveexec_b32 s0, vcc_lo
	s_cbranch_execz .LBB0_15
; %bb.1:
	v_mul_hi_u32 v2, 0xaaaaaaab, v24
	s_clause 0x1
	s_load_dwordx2 s[12:13], s[4:5], 0x0
	s_load_dwordx2 s[14:15], s[4:5], 0x38
	v_mul_lo_u16 v1, 0x55, v1
	v_sub_nc_u16 v0, v0, v1
	v_lshrrev_b32_e32 v2, 1, v2
	v_and_b32_e32 v52, 0xffff, v0
	v_lshl_add_u32 v2, v2, 1, v2
	v_cmp_gt_u16_e32 vcc_lo, 0x4b, v0
	v_lshlrev_b32_e32 v51, 2, v52
	v_sub_nc_u32_e32 v1, v24, v2
	v_mul_u32_u24_e32 v16, 0x4fb, v1
	v_lshlrev_b32_e32 v54, 2, v16
	s_and_saveexec_b32 s1, vcc_lo
	s_cbranch_execz .LBB0_3
; %bb.2:
	s_load_dwordx2 s[6:7], s[4:5], 0x18
	s_waitcnt lgkmcnt(0)
	s_load_dwordx4 s[8:11], s[6:7], 0x0
	s_clause 0x6
	global_load_dword v8, v51, s[12:13]
	global_load_dword v9, v51, s[12:13] offset:300
	global_load_dword v10, v51, s[12:13] offset:600
	;; [unrolled: 1-line block ×6, first 2 shown]
	s_waitcnt lgkmcnt(0)
	v_mad_u64_u32 v[0:1], null, s10, v24, 0
	v_mad_u64_u32 v[2:3], null, s8, v52, 0
	s_mul_i32 s6, s9, 0x12c
	s_mul_hi_u32 s7, s8, 0x12c
	s_add_i32 s7, s7, s6
	v_mad_u64_u32 v[4:5], null, s11, v24, v[1:2]
	v_mad_u64_u32 v[5:6], null, s9, v52, v[3:4]
	v_mov_b32_e32 v1, v4
	v_add_co_u32 v6, s0, s12, v51
	v_add_co_ci_u32_e64 v7, null, s13, 0, s0
	v_lshlrev_b64 v[0:1], 2, v[0:1]
	v_mov_b32_e32 v3, v5
	v_add_co_u32 v0, s0, s2, v0
	v_lshlrev_b64 v[2:3], 2, v[2:3]
	v_add_co_ci_u32_e64 v1, s0, s3, v1, s0
	s_mul_i32 s2, s8, 0x12c
	v_add_co_u32 v0, s0, v0, v2
	v_add_co_ci_u32_e64 v1, s0, v1, v3, s0
	v_add_co_u32 v2, s0, v0, s2
	v_add_co_ci_u32_e64 v3, s0, s7, v1, s0
	s_clause 0x1
	global_load_dword v15, v[0:1], off
	global_load_dword v17, v[2:3], off
	v_add_co_u32 v0, s0, v2, s2
	v_add_co_ci_u32_e64 v1, s0, s7, v3, s0
	v_add_co_u32 v2, s0, v0, s2
	v_add_co_ci_u32_e64 v3, s0, s7, v1, s0
	global_load_dword v18, v[0:1], off
	v_add_co_u32 v0, s0, v2, s2
	v_add_co_ci_u32_e64 v1, s0, s7, v3, s0
	v_add_co_u32 v4, s0, 0x800, v6
	v_add_co_ci_u32_e64 v5, s0, 0, v7, s0
	s_clause 0x1
	global_load_dword v19, v[2:3], off
	global_load_dword v20, v[0:1], off
	v_add_co_u32 v0, s0, v0, s2
	v_add_co_ci_u32_e64 v1, s0, s7, v1, s0
	s_clause 0x1
	global_load_dword v21, v[4:5], off offset:52
	global_load_dword v22, v[4:5], off offset:352
	v_add_co_u32 v2, s0, v0, s2
	v_add_co_ci_u32_e64 v3, s0, s7, v1, s0
	global_load_dword v23, v[0:1], off
	v_add_co_u32 v0, s0, v2, s2
	v_add_co_ci_u32_e64 v1, s0, s7, v3, s0
	global_load_dword v25, v[2:3], off
	;; [unrolled: 3-line block ×4, first 2 shown]
	v_add_co_u32 v2, s0, v0, s2
	v_add_co_ci_u32_e64 v3, s0, s7, v1, s0
	v_add_co_u32 v6, s0, 0x1000, v6
	v_add_co_ci_u32_e64 v7, s0, 0, v7, s0
	global_load_dword v28, v[4:5], off offset:652
	global_load_dword v29, v[0:1], off
	global_load_dword v30, v[2:3], off
	v_add_co_u32 v0, s0, v2, s2
	v_add_co_ci_u32_e64 v1, s0, s7, v3, s0
	s_clause 0x3
	global_load_dword v31, v[4:5], off offset:952
	global_load_dword v32, v[4:5], off offset:1252
	;; [unrolled: 1-line block ×4, first 2 shown]
	v_add_co_u32 v2, s0, v0, s2
	v_add_co_ci_u32_e64 v3, s0, s7, v1, s0
	global_load_dword v5, v[0:1], off
	v_add_co_u32 v0, s0, v2, s2
	v_add_co_ci_u32_e64 v1, s0, s7, v3, s0
	global_load_dword v34, v[2:3], off
	;; [unrolled: 3-line block ×4, first 2 shown]
	v_add_co_u32 v2, s0, v0, s2
	v_add_co_ci_u32_e64 v3, s0, s7, v1, s0
	global_load_dword v37, v[6:7], off offset:104
	global_load_dword v0, v[0:1], off
	global_load_dword v1, v[2:3], off
	s_clause 0x1
	global_load_dword v2, v[6:7], off offset:404
	global_load_dword v3, v[6:7], off offset:704
	v_lshl_add_u32 v7, v52, 2, v54
	v_add_nc_u32_e32 v6, v54, v51
	v_add_nc_u32_e32 v38, 0x200, v6
	;; [unrolled: 1-line block ×6, first 2 shown]
	s_waitcnt vmcnt(26)
	v_lshrrev_b32_e32 v39, 16, v15
	v_mul_f16_sdwa v42, v8, v15 dst_sel:DWORD dst_unused:UNUSED_PAD src0_sel:WORD_1 src1_sel:DWORD
	s_waitcnt vmcnt(25)
	v_lshrrev_b32_e32 v45, 16, v17
	v_mul_f16_sdwa v44, v8, v39 dst_sel:DWORD dst_unused:UNUSED_PAD src0_sel:WORD_1 src1_sel:DWORD
	v_fma_f16 v39, v8, v39, -v42
	v_mul_f16_sdwa v42, v9, v17 dst_sel:DWORD dst_unused:UNUSED_PAD src0_sel:WORD_1 src1_sel:DWORD
	v_fmac_f16_e32 v44, v8, v15
	v_mul_f16_sdwa v8, v9, v45 dst_sel:DWORD dst_unused:UNUSED_PAD src0_sel:WORD_1 src1_sel:DWORD
	v_fma_f16 v42, v9, v45, -v42
	s_waitcnt vmcnt(24)
	v_lshrrev_b32_e32 v15, 16, v18
	v_mul_f16_sdwa v47, v10, v18 dst_sel:DWORD dst_unused:UNUSED_PAD src0_sel:WORD_1 src1_sel:DWORD
	v_pack_b32_f16 v39, v44, v39
	v_fmac_f16_e32 v8, v9, v17
	v_mul_f16_sdwa v9, v10, v15 dst_sel:DWORD dst_unused:UNUSED_PAD src0_sel:WORD_1 src1_sel:DWORD
	v_fma_f16 v15, v10, v15, -v47
	ds_write_b32 v7, v39
	s_waitcnt vmcnt(23)
	v_lshrrev_b32_e32 v17, 16, v19
	v_mul_f16_sdwa v44, v11, v19 dst_sel:DWORD dst_unused:UNUSED_PAD src0_sel:WORD_1 src1_sel:DWORD
	v_pack_b32_f16 v7, v8, v42
	v_fmac_f16_e32 v9, v10, v18
	s_waitcnt vmcnt(22)
	v_lshrrev_b32_e32 v10, 16, v20
	v_mul_f16_sdwa v8, v11, v17 dst_sel:DWORD dst_unused:UNUSED_PAD src0_sel:WORD_1 src1_sel:DWORD
	v_mul_f16_sdwa v18, v12, v20 dst_sel:DWORD dst_unused:UNUSED_PAD src0_sel:WORD_1 src1_sel:DWORD
	v_fma_f16 v17, v11, v17, -v44
	v_pack_b32_f16 v9, v9, v15
	v_fmac_f16_e32 v8, v11, v19
	v_mul_f16_sdwa v11, v12, v10 dst_sel:DWORD dst_unused:UNUSED_PAD src0_sel:WORD_1 src1_sel:DWORD
	s_waitcnt vmcnt(19)
	v_lshrrev_b32_e32 v15, 16, v23
	v_fma_f16 v10, v12, v10, -v18
	v_mul_f16_sdwa v18, v13, v23 dst_sel:DWORD dst_unused:UNUSED_PAD src0_sel:WORD_1 src1_sel:DWORD
	ds_write2_b32 v6, v7, v9 offset0:75 offset1:150
	v_pack_b32_f16 v7, v8, v17
	v_fmac_f16_e32 v11, v12, v20
	v_mul_f16_sdwa v8, v13, v15 dst_sel:DWORD dst_unused:UNUSED_PAD src0_sel:WORD_1 src1_sel:DWORD
	s_waitcnt vmcnt(18)
	v_lshrrev_b32_e32 v9, 16, v25
	v_mul_f16_sdwa v12, v14, v25 dst_sel:DWORD dst_unused:UNUSED_PAD src0_sel:WORD_1 src1_sel:DWORD
	v_fma_f16 v15, v13, v15, -v18
	v_pack_b32_f16 v10, v11, v10
	v_fmac_f16_e32 v8, v13, v23
	v_mul_f16_sdwa v11, v14, v9 dst_sel:DWORD dst_unused:UNUSED_PAD src0_sel:WORD_1 src1_sel:DWORD
	v_fma_f16 v9, v14, v9, -v12
	s_waitcnt vmcnt(17)
	v_lshrrev_b32_e32 v12, 16, v26
	v_mul_f16_sdwa v13, v21, v26 dst_sel:DWORD dst_unused:UNUSED_PAD src0_sel:WORD_1 src1_sel:DWORD
	ds_write2_b32 v38, v7, v10 offset0:97 offset1:172
	v_pack_b32_f16 v7, v8, v15
	v_fmac_f16_e32 v11, v14, v25
	v_mul_f16_sdwa v8, v21, v12 dst_sel:DWORD dst_unused:UNUSED_PAD src0_sel:WORD_1 src1_sel:DWORD
	s_waitcnt vmcnt(16)
	v_lshrrev_b32_e32 v10, 16, v27
	v_mul_f16_sdwa v14, v22, v27 dst_sel:DWORD dst_unused:UNUSED_PAD src0_sel:WORD_1 src1_sel:DWORD
	v_fma_f16 v12, v21, v12, -v13
	v_pack_b32_f16 v9, v11, v9
	v_fmac_f16_e32 v8, v21, v26
	s_waitcnt vmcnt(14)
	v_lshrrev_b32_e32 v13, 16, v29
	v_mul_f16_sdwa v11, v22, v10 dst_sel:DWORD dst_unused:UNUSED_PAD src0_sel:WORD_1 src1_sel:DWORD
	v_fma_f16 v10, v22, v10, -v14
	v_mul_f16_sdwa v14, v28, v29 dst_sel:DWORD dst_unused:UNUSED_PAD src0_sel:WORD_1 src1_sel:DWORD
	ds_write2_b32 v40, v7, v9 offset0:119 offset1:194
	v_pack_b32_f16 v7, v8, v12
	v_mul_f16_sdwa v8, v28, v13 dst_sel:DWORD dst_unused:UNUSED_PAD src0_sel:WORD_1 src1_sel:DWORD
	v_fmac_f16_e32 v11, v22, v27
	s_waitcnt vmcnt(13)
	v_lshrrev_b32_e32 v9, 16, v30
	v_fma_f16 v12, v28, v13, -v14
	s_waitcnt vmcnt(8)
	v_lshrrev_b32_e32 v14, 16, v5
	v_fmac_f16_e32 v8, v28, v29
	v_mul_f16_sdwa v13, v31, v30 dst_sel:DWORD dst_unused:UNUSED_PAD src0_sel:WORD_1 src1_sel:DWORD
	v_pack_b32_f16 v10, v11, v10
	v_mul_f16_sdwa v11, v31, v9 dst_sel:DWORD dst_unused:UNUSED_PAD src0_sel:WORD_1 src1_sel:DWORD
	v_mul_f16_sdwa v15, v32, v5 dst_sel:DWORD dst_unused:UNUSED_PAD src0_sel:WORD_1 src1_sel:DWORD
	v_pack_b32_f16 v8, v8, v12
	v_mul_f16_sdwa v12, v32, v14 dst_sel:DWORD dst_unused:UNUSED_PAD src0_sel:WORD_1 src1_sel:DWORD
	v_fma_f16 v9, v31, v9, -v13
	v_fmac_f16_e32 v11, v31, v30
	v_fma_f16 v13, v32, v14, -v15
	s_waitcnt vmcnt(7)
	v_lshrrev_b32_e32 v14, 16, v34
	v_mul_f16_sdwa v15, v33, v34 dst_sel:DWORD dst_unused:UNUSED_PAD src0_sel:WORD_1 src1_sel:DWORD
	v_fmac_f16_e32 v12, v32, v5
	s_waitcnt vmcnt(6)
	v_lshrrev_b32_e32 v5, 16, v35
	v_pack_b32_f16 v9, v11, v9
	v_mul_f16_sdwa v11, v33, v14 dst_sel:DWORD dst_unused:UNUSED_PAD src0_sel:WORD_1 src1_sel:DWORD
	v_fma_f16 v14, v33, v14, -v15
	v_mul_f16_sdwa v15, v4, v35 dst_sel:DWORD dst_unused:UNUSED_PAD src0_sel:WORD_1 src1_sel:DWORD
	v_pack_b32_f16 v12, v12, v13
	v_mul_f16_sdwa v13, v4, v5 dst_sel:DWORD dst_unused:UNUSED_PAD src0_sel:WORD_1 src1_sel:DWORD
	s_waitcnt vmcnt(5)
	v_lshrrev_b32_e32 v17, 16, v36
	s_waitcnt vmcnt(2)
	v_lshrrev_b32_e32 v19, 16, v1
	v_fma_f16 v5, v4, v5, -v15
	v_mul_f16_sdwa v15, v37, v36 dst_sel:DWORD dst_unused:UNUSED_PAD src0_sel:WORD_1 src1_sel:DWORD
	v_fmac_f16_e32 v13, v4, v35
	v_lshrrev_b32_e32 v4, 16, v0
	v_mul_f16_sdwa v18, v37, v17 dst_sel:DWORD dst_unused:UNUSED_PAD src0_sel:WORD_1 src1_sel:DWORD
	s_waitcnt vmcnt(0)
	v_mul_f16_sdwa v21, v3, v1 dst_sel:DWORD dst_unused:UNUSED_PAD src0_sel:WORD_1 src1_sel:DWORD
	v_fma_f16 v15, v37, v17, -v15
	v_mul_f16_sdwa v17, v2, v0 dst_sel:DWORD dst_unused:UNUSED_PAD src0_sel:WORD_1 src1_sel:DWORD
	v_mul_f16_sdwa v20, v2, v4 dst_sel:DWORD dst_unused:UNUSED_PAD src0_sel:WORD_1 src1_sel:DWORD
	;; [unrolled: 1-line block ×3, first 2 shown]
	v_fmac_f16_e32 v11, v33, v34
	v_fmac_f16_e32 v18, v37, v36
	v_fma_f16 v4, v2, v4, -v17
	v_fmac_f16_e32 v20, v2, v0
	v_fma_f16 v0, v3, v19, -v21
	v_fmac_f16_e32 v22, v3, v1
	v_pack_b32_f16 v1, v11, v14
	v_pack_b32_f16 v2, v13, v5
	v_pack_b32_f16 v3, v18, v15
	v_pack_b32_f16 v4, v20, v4
	v_pack_b32_f16 v0, v22, v0
	v_add_nc_u32_e32 v5, 0x1000, v6
	ds_write2_b32 v41, v7, v10 offset0:13 offset1:88
	ds_write2_b32 v41, v8, v9 offset0:163 offset1:238
	ds_write2_b32 v43, v12, v1 offset0:57 offset1:132
	ds_write2_b32 v46, v2, v3 offset0:79 offset1:154
	ds_write2_b32 v5, v4, v0 offset0:101 offset1:176
.LBB0_3:
	s_or_b32 exec_lo, exec_lo, s1
	s_clause 0x1
	s_load_dwordx2 s[0:1], s[4:5], 0x20
	s_load_dwordx2 s[2:3], s[4:5], 0x8
	v_mov_b32_e32 v6, 0
	s_waitcnt lgkmcnt(0)
	s_barrier
	buffer_gl0_inv
                                        ; implicit-def: $vgpr17
                                        ; implicit-def: $vgpr1
                                        ; implicit-def: $vgpr3
                                        ; implicit-def: $vgpr5
                                        ; implicit-def: $vgpr9
                                        ; implicit-def: $vgpr11
                                        ; implicit-def: $vgpr13
                                        ; implicit-def: $vgpr15
                                        ; implicit-def: $vgpr88
                                        ; kill: def $vgpr0 killed $sgpr0 killed $exec
	s_and_saveexec_b32 s4, vcc_lo
	s_cbranch_execz .LBB0_5
; %bb.4:
	v_lshl_add_u32 v17, v16, 2, v51
	ds_read2_b32 v[6:7], v17 offset1:75
	ds_read2_b32 v[14:15], v17 offset0:150 offset1:225
	v_add_nc_u32_e32 v0, 0x400, v17
	v_add_nc_u32_e32 v1, 0x600, v17
	;; [unrolled: 1-line block ×6, first 2 shown]
	ds_read2_b32 v[12:13], v0 offset0:44 offset1:119
	ds_read2_b32 v[10:11], v1 offset0:66 offset1:141
	;; [unrolled: 1-line block ×6, first 2 shown]
	ds_read_b32 v17, v17 offset:4800
	s_waitcnt lgkmcnt(7)
	v_alignbit_b32 v88, v14, v14, 16
.LBB0_5:
	s_or_b32 exec_lo, exec_lo, s4
	s_waitcnt lgkmcnt(0)
	v_pk_add_f16 v14, v7, v17 neg_lo:[0,1] neg_hi:[0,1]
	v_mov_b32_e32 v44, 0xb5c8
	v_pk_add_f16 v20, v17, v7
	v_pk_add_f16 v18, v1, v88 op_sel:[1,0] op_sel_hi:[0,1]
	v_pk_add_f16 v23, v88, v1 op_sel:[1,0] op_sel_hi:[0,1] neg_lo:[0,1] neg_hi:[0,1]
	v_mov_b32_e32 v87, 0xb964
	v_mul_f16_sdwa v45, v14, v44 dst_sel:DWORD dst_unused:UNUSED_PAD src0_sel:WORD_1 src1_sel:DWORD
	v_lshrrev_b32_e32 v38, 16, v20
	v_mul_f16_e32 v61, 0xb964, v14
	v_lshrrev_b32_e32 v34, 16, v18
	v_mul_f16_sdwa v46, v23, v87 dst_sel:DWORD dst_unused:UNUSED_PAD src0_sel:WORD_1 src1_sel:DWORD
	v_fmamk_f16 v21, v20, 0x3b76, v45
	v_pk_add_f16 v19, v15, v0 neg_lo:[0,1] neg_hi:[0,1]
	v_mov_b32_e32 v70, 0xbb29
	v_fma_f16 v22, v38, 0x39e9, -v61
	v_fmamk_f16 v26, v34, 0x39e9, v46
	v_add_f16_e32 v25, v21, v6
	v_mul_f16_e32 v62, 0xbbf7, v23
	v_pk_add_f16 v21, v0, v15
	v_mul_f16_sdwa v47, v19, v70 dst_sel:DWORD dst_unused:UNUSED_PAD src0_sel:WORD_1 src1_sel:DWORD
	v_add_f16_sdwa v28, v22, v6 dst_sel:DWORD dst_unused:UNUSED_PAD src0_sel:DWORD src1_sel:WORD_1
	v_add_f16_e32 v25, v26, v25
	v_fma_f16 v26, v18, 0x2de8, -v62
	v_pk_add_f16 v22, v12, v3 neg_lo:[0,1] neg_hi:[0,1]
	v_mov_b32_e32 v50, 0xbbf7
	v_fmamk_f16 v29, v21, 0x3722, v47
	v_lshrrev_b32_e32 v40, 16, v21
	v_mul_f16_e32 v66, 0xba62, v19
	v_pk_add_f16 v27, v3, v12
	v_mul_f16_sdwa v49, v22, v50 dst_sel:DWORD dst_unused:UNUSED_PAD src0_sel:WORD_1 src1_sel:DWORD
	v_add_f16_e32 v26, v26, v28
	v_add_f16_e32 v25, v29, v25
	v_fma_f16 v30, v40, 0xb8d2, -v66
	v_lshrrev_b32_e32 v36, 16, v27
	v_mul_f16_e32 v67, 0xb1e1, v22
	v_pk_add_f16 v28, v13, v2 neg_lo:[0,1] neg_hi:[0,1]
	v_mov_b32_e32 v89, 0xbbb2
	v_pk_add_f16 v29, v2, v13
	v_fmamk_f16 v31, v27, 0x2de8, v49
	v_add_f16_e32 v26, v30, v26
	v_fma_f16 v32, v36, 0xbbdd, -v67
	v_mul_f16_sdwa v53, v28, v89 dst_sel:DWORD dst_unused:UNUSED_PAD src0_sel:WORD_1 src1_sel:DWORD
	v_lshrrev_b32_e32 v39, 16, v29
	v_mul_f16_e32 v65, 0x3836, v28
	v_add_f16_e32 v25, v31, v25
	v_pk_add_f16 v30, v10, v5 neg_lo:[0,1] neg_hi:[0,1]
	v_pk_add_f16 v31, v5, v10
	v_add_f16_e32 v26, v32, v26
	v_fmamk_f16 v32, v29, 0xb461, v53
	v_fma_f16 v33, v39, 0xbacd, -v65
	v_mul_f16_e32 v68, 0x3bb2, v30
	v_lshrrev_b32_e32 v41, 16, v31
	v_pk_mul_f16 v43, 0x3b7639e9, v20
	v_add_f16_e32 v25, v32, v25
	v_add_f16_e32 v26, v33, v26
	v_pk_add_f16 v32, v11, v4 neg_lo:[0,1] neg_hi:[0,1]
	v_pk_add_f16 v33, v4, v11
	v_fma_f16 v37, v41, 0xb461, -v68
	v_pk_mul_f16 v55, 0xbbf7b964, v23
	v_pk_fma_f16 v58, 0xb964b5c8, v14, v43 op_sel:[0,0,1] op_sel_hi:[1,1,0]
	v_mul_f16_e32 v82, 0x3b29, v32
	v_lshrrev_b32_e32 v42, 16, v33
	v_pk_fma_f16 v78, 0xb964b5c8, v14, v43 op_sel:[0,0,1] op_sel_hi:[1,1,0] neg_lo:[0,1,0] neg_hi:[0,1,0]
	v_mov_b32_e32 v85, 0xba62
	v_add_f16_e32 v26, v37, v26
	v_pk_fma_f16 v59, 0x2de839e9, v18, v55
	v_fma_f16 v37, v42, 0x3722, -v82
	v_add_f16_sdwa v56, v58, v6 dst_sel:DWORD dst_unused:UNUSED_PAD src0_sel:WORD_1 src1_sel:DWORD
	v_pk_mul_f16 v63, 0x3722b8d2, v21
	v_pk_fma_f16 v81, 0x2de839e9, v18, v55 neg_lo:[0,0,1] neg_hi:[0,0,1]
	v_add_f16_sdwa v43, v78, v6 dst_sel:DWORD dst_unused:UNUSED_PAD src0_sel:DWORD src1_sel:WORD_1
	v_mul_f16_sdwa v48, v30, v85 dst_sel:DWORD dst_unused:UNUSED_PAD src0_sel:WORD_1 src1_sel:DWORD
	v_mov_b32_e32 v60, 0xb836
	v_add_f16_e32 v91, v37, v26
	v_add_f16_sdwa v26, v59, v56 dst_sel:DWORD dst_unused:UNUSED_PAD src0_sel:WORD_1 src1_sel:DWORD
	v_pk_fma_f16 v64, 0xba62bb29, v19, v63 op_sel:[0,0,1] op_sel_hi:[1,1,0]
	v_pk_mul_f16 v56, 0x2de8bbdd, v27
	v_pk_fma_f16 v83, 0xba62bb29, v19, v63 op_sel:[0,0,1] op_sel_hi:[1,1,0] neg_lo:[0,1,0] neg_hi:[0,1,0]
	v_add_f16_e32 v43, v81, v43
	v_fmamk_f16 v35, v31, 0xb8d2, v48
	v_mul_f16_sdwa v57, v32, v60 dst_sel:DWORD dst_unused:UNUSED_PAD src0_sel:WORD_1 src1_sel:DWORD
	v_add_f16_sdwa v26, v64, v26 dst_sel:DWORD dst_unused:UNUSED_PAD src0_sel:WORD_1 src1_sel:DWORD
	v_pk_fma_f16 v75, 0xb1e1bbf7, v22, v56 op_sel:[0,0,1] op_sel_hi:[1,1,0]
	v_pk_mul_f16 v55, 0xb461bacd, v29
	v_pk_fma_f16 v84, 0xb1e1bbf7, v22, v56 op_sel:[0,0,1] op_sel_hi:[1,1,0] neg_lo:[0,1,0] neg_hi:[0,1,0]
	v_add_f16_e32 v43, v83, v43
	v_add_f16_e32 v25, v35, v25
	v_fmamk_f16 v35, v33, 0xbacd, v57
	v_add_f16_sdwa v26, v75, v26 dst_sel:DWORD dst_unused:UNUSED_PAD src0_sel:WORD_1 src1_sel:DWORD
	v_pk_fma_f16 v69, 0x3836bbb2, v28, v55 op_sel:[0,0,1] op_sel_hi:[1,1,0]
	v_pk_mul_f16 v63, 0xb8d2b461, v31
	v_pk_fma_f16 v73, 0x3836bbb2, v28, v55 op_sel:[0,0,1] op_sel_hi:[1,1,0] neg_lo:[0,1,0] neg_hi:[0,1,0]
	v_add_f16_e32 v43, v84, v43
	v_add_f16_e32 v25, v35, v25
	v_pk_add_f16 v35, v8, v9 neg_lo:[0,1] neg_hi:[0,1]
	v_mov_b32_e32 v90, 0xb1e1
	v_pk_add_f16 v37, v9, v8
	v_add_f16_sdwa v26, v69, v26 dst_sel:DWORD dst_unused:UNUSED_PAD src0_sel:WORD_1 src1_sel:DWORD
	v_pk_fma_f16 v71, 0x3bb2ba62, v30, v63 op_sel:[0,0,1] op_sel_hi:[1,1,0]
	v_pk_mul_f16 v56, 0xbacd3722, v33
	v_pk_fma_f16 v77, 0x3bb2ba62, v30, v63 op_sel:[0,0,1] op_sel_hi:[1,1,0] neg_lo:[0,1,0] neg_hi:[0,1,0]
	v_add_f16_e32 v63, v73, v43
	v_mul_f16_sdwa v74, v35, v90 dst_sel:DWORD dst_unused:UNUSED_PAD src0_sel:WORD_1 src1_sel:DWORD
	v_add_f16_sdwa v26, v71, v26 dst_sel:DWORD dst_unused:UNUSED_PAD src0_sel:WORD_1 src1_sel:DWORD
	v_pk_fma_f16 v72, 0x3b29b836, v32, v56 op_sel:[0,0,1] op_sel_hi:[1,1,0]
	v_pk_mul_f16 v80, 0xbbdd3b76, v37
	v_lshrrev_b32_e32 v43, 16, v37
	v_mul_f16_e32 v86, 0x35c8, v35
	v_pk_fma_f16 v76, 0x3b29b836, v32, v56 op_sel:[0,0,1] op_sel_hi:[1,1,0] neg_lo:[0,1,0] neg_hi:[0,1,0]
	v_add_f16_e32 v56, v77, v63
	v_fmamk_f16 v55, v37, 0xbbdd, v74
	v_add_f16_sdwa v63, v72, v26 dst_sel:DWORD dst_unused:UNUSED_PAD src0_sel:WORD_1 src1_sel:DWORD
	v_pk_fma_f16 v79, 0x35c8b1e1, v35, v80 op_sel:[0,0,1] op_sel_hi:[1,1,0]
	v_fma_f16 v92, v43, 0x3b76, -v86
	v_pk_fma_f16 v80, 0x35c8b1e1, v35, v80 op_sel:[0,0,1] op_sel_hi:[1,1,0] neg_lo:[0,1,0] neg_hi:[0,1,0]
	v_add_f16_e32 v93, v76, v56
	v_add_f16_e32 v26, v55, v25
	v_add_f16_sdwa v25, v79, v63 dst_sel:DWORD dst_unused:UNUSED_PAD src0_sel:WORD_1 src1_sel:DWORD
	v_add_f16_e32 v56, v92, v91
	v_add_f16_e32 v55, v80, v93
	s_barrier
	buffer_gl0_inv
	s_and_saveexec_b32 s4, vcc_lo
	s_cbranch_execz .LBB0_7
; %bb.6:
	v_mul_f16_e32 v98, 0xb836, v14
	v_mul_f16_e32 v99, 0x3b29, v23
	;; [unrolled: 1-line block ×4, first 2 shown]
	v_alignbit_b32 v63, v6, v6, 16
	v_fmamk_f16 v92, v38, 0xbacd, v98
	v_fmamk_f16 v93, v18, 0x3722, v99
	;; [unrolled: 1-line block ×3, first 2 shown]
	v_mul_f16_sdwa v91, v14, v60 dst_sel:DWORD dst_unused:UNUSED_PAD src0_sel:WORD_1 src1_sel:DWORD
	v_mov_b32_e32 v100, 0x3b29
	v_add_f16_sdwa v94, v92, v6 dst_sel:DWORD dst_unused:UNUSED_PAD src0_sel:DWORD src1_sel:WORD_1
	v_mul_f16_e32 v97, 0xb5c8, v28
	v_fmamk_f16 v104, v36, 0xb8d2, v102
	v_alignbit_b32 v88, v88, v88, 16
	v_mul_f16_e32 v96, 0xb1e1, v30
	v_add_f16_e32 v93, v93, v94
	v_pk_add_f16 v7, v7, v63 op_sel:[0,1] op_sel_hi:[1,0]
	v_mul_f16_sdwa v105, v23, v100 dst_sel:DWORD dst_unused:UNUSED_PAD src0_sel:WORD_1 src1_sel:DWORD
	v_fmamk_f16 v106, v39, 0x3b76, v97
	v_mul_f16_sdwa v92, v19, v50 dst_sel:DWORD dst_unused:UNUSED_PAD src0_sel:WORD_1 src1_sel:DWORD
	v_add_f16_e32 v93, v95, v93
	v_fma_f16 v95, v20, 0xbacd, -v91
	v_mul_f16_e32 v94, 0x3964, v32
	v_pk_add_f16 v7, v88, v7
	v_mov_b32_e32 v103, 0x3a62
	v_add_f16_e32 v93, v104, v93
	v_fmamk_f16 v104, v41, 0xbbdd, v96
	v_add_f16_e32 v88, v95, v6
	v_fma_f16 v95, v34, 0x3722, -v105
	v_fma_f16 v107, v21, 0x2de8, -v92
	v_add_f16_e32 v106, v106, v93
	v_fmamk_f16 v108, v42, 0x39e9, v94
	v_pk_add_f16 v7, v15, v7
	v_add_f16_e32 v15, v95, v88
	v_mul_f16_sdwa v93, v22, v103 dst_sel:DWORD dst_unused:UNUSED_PAD src0_sel:WORD_1 src1_sel:DWORD
	v_add_f16_e32 v88, v104, v106
	v_mul_f16_e32 v104, 0xba62, v14
	v_pk_add_f16 v7, v12, v7
	v_add_f16_e32 v12, v107, v15
	v_mul_f16_e32 v107, 0x3bb2, v23
	v_add_f16_e32 v15, v108, v88
	v_fmamk_f16 v88, v38, 0xb8d2, v104
	v_fma_f16 v95, v27, 0xb8d2, -v93
	v_mul_f16_sdwa v108, v28, v44 dst_sel:DWORD dst_unused:UNUSED_PAD src0_sel:WORD_1 src1_sel:DWORD
	v_fmamk_f16 v109, v18, 0xb461, v107
	v_mul_f16_e32 v110, 0xb5c8, v19
	v_add_f16_sdwa v88, v88, v6 dst_sel:DWORD dst_unused:UNUSED_PAD src0_sel:DWORD src1_sel:WORD_1
	v_add_f16_e32 v12, v95, v12
	v_fma_f16 v111, v29, 0x3b76, -v108
	v_mul_f16_sdwa v112, v30, v90 dst_sel:DWORD dst_unused:UNUSED_PAD src0_sel:WORD_1 src1_sel:DWORD
	v_mov_b32_e32 v113, 0x3964
	v_add_f16_e32 v88, v109, v88
	v_fmamk_f16 v109, v40, 0x3b76, v110
	v_mul_f16_e32 v114, 0xb836, v22
	v_mul_f16_e32 v106, 0xbbb2, v35
	v_add_f16_e32 v12, v111, v12
	v_fma_f16 v111, v31, 0xbbdd, -v112
	v_mul_f16_sdwa v115, v32, v113 dst_sel:DWORD dst_unused:UNUSED_PAD src0_sel:WORD_1 src1_sel:DWORD
	v_add_f16_e32 v109, v109, v88
	v_fmamk_f16 v116, v36, 0xbacd, v114
	v_mul_f16_e32 v117, 0x3bf7, v28
	v_fmamk_f16 v95, v43, 0xb461, v106
	v_add_f16_e32 v12, v111, v12
	v_fma_f16 v111, v33, 0x39e9, -v115
	v_pk_add_f16 v88, v13, v7
	v_add_f16_e32 v13, v116, v109
	v_fmamk_f16 v109, v39, 0x2de8, v117
	v_add_f16_e32 v7, v95, v15
	v_add_f16_e32 v12, v111, v12
	v_mul_f16_e32 v95, 0xb964, v30
	v_mul_f16_sdwa v111, v35, v89 dst_sel:DWORD dst_unused:UNUSED_PAD src0_sel:WORD_1 src1_sel:DWORD
	v_add_f16_e32 v13, v109, v13
	v_mul_f16_sdwa v109, v14, v85 dst_sel:DWORD dst_unused:UNUSED_PAD src0_sel:WORD_1 src1_sel:DWORD
	v_mov_b32_e32 v116, 0x3bb2
	v_fmamk_f16 v15, v41, 0x39e9, v95
	v_mul_f16_e32 v118, 0xb1e1, v32
	v_fma_f16 v119, v37, 0xb461, -v111
	v_fma_f16 v120, v20, 0xb8d2, -v109
	v_mul_f16_sdwa v121, v23, v116 dst_sel:DWORD dst_unused:UNUSED_PAD src0_sel:WORD_1 src1_sel:DWORD
	v_add_f16_e32 v13, v15, v13
	v_fmamk_f16 v15, v42, 0xbbdd, v118
	v_add_f16_e32 v12, v119, v12
	v_add_f16_e32 v119, v120, v6
	v_fma_f16 v120, v34, 0xb461, -v121
	v_mul_f16_e32 v122, 0xbbb2, v14
	v_add_f16_e32 v13, v15, v13
	v_mul_f16_sdwa v123, v19, v44 dst_sel:DWORD dst_unused:UNUSED_PAD src0_sel:WORD_1 src1_sel:DWORD
	v_mul_f16_sdwa v126, v22, v60 dst_sel:DWORD dst_unused:UNUSED_PAD src0_sel:WORD_1 src1_sel:DWORD
	v_add_f16_e32 v15, v120, v119
	v_fmamk_f16 v119, v38, 0xb461, v122
	v_mul_f16_e32 v120, 0x3836, v23
	v_fma_f16 v125, v21, 0x3b76, -v123
	v_mov_b32_e32 v127, 0x3bf7
	v_mul_f16_e32 v129, 0x3964, v19
	v_add_f16_sdwa v119, v119, v6 dst_sel:DWORD dst_unused:UNUSED_PAD src0_sel:DWORD src1_sel:WORD_1
	v_fmamk_f16 v128, v18, 0xbacd, v120
	v_add_f16_e32 v15, v125, v15
	v_fma_f16 v125, v27, 0xbacd, -v126
	v_mul_f16_sdwa v130, v28, v127 dst_sel:DWORD dst_unused:UNUSED_PAD src0_sel:WORD_1 src1_sel:DWORD
	v_mul_f16_e32 v131, 0xbb29, v22
	v_add_f16_e32 v119, v128, v119
	v_fmamk_f16 v128, v40, 0x39e9, v129
	v_add_f16_e32 v15, v125, v15
	v_fma_f16 v125, v29, 0x2de8, -v130
	v_mul_f16_sdwa v132, v30, v87 dst_sel:DWORD dst_unused:UNUSED_PAD src0_sel:WORD_1 src1_sel:DWORD
	v_mul_f16_sdwa v133, v32, v90 dst_sel:DWORD dst_unused:UNUSED_PAD src0_sel:WORD_1 src1_sel:DWORD
	v_add_f16_e32 v87, v128, v119
	v_fmamk_f16 v119, v36, 0x3722, v131
	v_mul_f16_e32 v128, 0xb1e1, v28
	v_add_f16_e32 v15, v125, v15
	v_fma_f16 v125, v31, 0x39e9, -v132
	v_mul_f16_e32 v134, 0x3bf7, v30
	v_add_f16_e32 v87, v119, v87
	v_fmamk_f16 v119, v39, 0xbbdd, v128
	v_mul_f16_e32 v124, 0x3b29, v35
	v_add_f16_e32 v15, v125, v15
	v_fma_f16 v125, v33, 0xbbdd, -v133
	v_mul_f16_sdwa v100, v35, v100 dst_sel:DWORD dst_unused:UNUSED_PAD src0_sel:WORD_1 src1_sel:DWORD
	v_add_f16_e32 v87, v119, v87
	v_fmamk_f16 v119, v41, 0x2de8, v134
	v_fmamk_f16 v135, v43, 0x3722, v124
	v_add_f16_e32 v15, v125, v15
	v_fma_f16 v136, v37, 0x3722, -v100
	v_mul_f16_e32 v138, 0xbbf7, v14
	v_add_f16_e32 v87, v119, v87
	v_mul_f16_sdwa v119, v14, v89 dst_sel:DWORD dst_unused:UNUSED_PAD src0_sel:WORD_1 src1_sel:DWORD
	v_mov_b32_e32 v89, 0x3836
	v_add_f16_e32 v13, v135, v13
	v_add_f16_e32 v15, v136, v15
	v_mul_f16_sdwa v139, v19, v113 dst_sel:DWORD dst_unused:UNUSED_PAD src0_sel:WORD_1 src1_sel:DWORD
	v_fma_f16 v135, v20, 0xb461, -v119
	v_mul_f16_sdwa v136, v23, v89 dst_sel:DWORD dst_unused:UNUSED_PAD src0_sel:WORD_1 src1_sel:DWORD
	v_fmamk_f16 v141, v38, 0x2de8, v138
	v_mul_f16_e32 v142, 0xb1e1, v23
	v_mul_f16_sdwa v143, v22, v70 dst_sel:DWORD dst_unused:UNUSED_PAD src0_sel:WORD_1 src1_sel:DWORD
	v_add_f16_e32 v89, v135, v6
	v_fma_f16 v135, v34, 0xbacd, -v136
	v_add_f16_sdwa v141, v141, v6 dst_sel:DWORD dst_unused:UNUSED_PAD src0_sel:DWORD src1_sel:WORD_1
	v_fmamk_f16 v144, v18, 0xbbdd, v142
	v_mul_f16_e32 v145, 0x3bb2, v19
	v_mul_f16_sdwa v146, v28, v90 dst_sel:DWORD dst_unused:UNUSED_PAD src0_sel:WORD_1 src1_sel:DWORD
	v_add_f16_e32 v89, v135, v89
	v_fma_f16 v135, v21, 0x39e9, -v139
	v_mul_f16_e32 v125, 0xb5c8, v32
	v_add_f16_e32 v141, v144, v141
	v_fmamk_f16 v144, v40, 0xb461, v145
	v_mul_f16_e32 v147, 0x35c8, v22
	v_add_f16_e32 v89, v135, v89
	v_fma_f16 v135, v27, 0x3722, -v143
	v_mul_f16_sdwa v127, v30, v127 dst_sel:DWORD dst_unused:UNUSED_PAD src0_sel:WORD_1 src1_sel:DWORD
	v_fmamk_f16 v137, v42, 0x3b76, v125
	v_add_f16_e32 v141, v144, v141
	v_fmamk_f16 v144, v36, 0x3b76, v147
	v_add_f16_e32 v89, v135, v89
	v_fma_f16 v135, v29, 0xbbdd, -v146
	v_mul_f16_e32 v148, 0xbb29, v28
	v_mul_f16_sdwa v149, v32, v44 dst_sel:DWORD dst_unused:UNUSED_PAD src0_sel:WORD_1 src1_sel:DWORD
	v_add_f16_e32 v87, v137, v87
	v_mul_f16_e32 v137, 0xba62, v35
	v_add_f16_e32 v89, v135, v89
	v_fma_f16 v135, v31, 0x2de8, -v127
	v_add_f16_e32 v141, v144, v141
	v_fmamk_f16 v144, v39, 0x3722, v148
	v_mul_f16_e32 v150, 0xb836, v30
	v_mul_f16_sdwa v151, v35, v85 dst_sel:DWORD dst_unused:UNUSED_PAD src0_sel:WORD_1 src1_sel:DWORD
	v_add_f16_e32 v89, v135, v89
	v_fma_f16 v135, v33, 0x3b76, -v149
	v_fmamk_f16 v140, v43, 0xb8d2, v137
	v_add_f16_e32 v141, v144, v141
	v_fmamk_f16 v144, v41, 0xbacd, v150
	v_mul_f16_e32 v152, 0x3a62, v32
	v_add_f16_e32 v89, v135, v89
	v_fma_f16 v135, v37, 0xb8d2, -v151
	v_mul_f16_sdwa v153, v14, v50 dst_sel:DWORD dst_unused:UNUSED_PAD src0_sel:WORD_1 src1_sel:DWORD
	v_add_f16_e32 v141, v144, v141
	v_fmamk_f16 v144, v42, 0xb8d2, v152
	v_add_f16_e32 v87, v140, v87
	v_add_f16_e32 v89, v135, v89
	v_fma_f16 v135, v20, 0x2de8, -v153
	v_mul_f16_sdwa v140, v23, v90 dst_sel:DWORD dst_unused:UNUSED_PAD src0_sel:WORD_1 src1_sel:DWORD
	v_add_f16_e32 v90, v144, v141
	v_mul_f16_e32 v144, 0xbb29, v14
	v_mul_f16_sdwa v155, v19, v116 dst_sel:DWORD dst_unused:UNUSED_PAD src0_sel:WORD_1 src1_sel:DWORD
	v_add_f16_e32 v135, v135, v6
	v_fma_f16 v154, v34, 0xbbdd, -v140
	v_mov_b32_e32 v156, 0x35c8
	v_fmamk_f16 v157, v38, 0x3722, v144
	v_mul_f16_e32 v158, 0xba62, v23
	v_mul_f16_e32 v160, 0x31e1, v19
	v_add_f16_e32 v135, v154, v135
	v_fma_f16 v154, v21, 0xb461, -v155
	v_mul_f16_sdwa v156, v22, v156 dst_sel:DWORD dst_unused:UNUSED_PAD src0_sel:WORD_1 src1_sel:DWORD
	v_add_f16_sdwa v157, v157, v6 dst_sel:DWORD dst_unused:UNUSED_PAD src0_sel:DWORD src1_sel:WORD_1
	v_fmamk_f16 v159, v18, 0xb8d2, v158
	v_mul_f16_sdwa v161, v28, v70 dst_sel:DWORD dst_unused:UNUSED_PAD src0_sel:WORD_1 src1_sel:DWORD
	v_add_f16_e32 v135, v154, v135
	v_fma_f16 v154, v27, 0x3b76, -v156
	v_mul_f16_e32 v162, 0x3bb2, v22
	v_add_f16_e32 v157, v159, v157
	v_fmamk_f16 v159, v40, 0xbbdd, v160
	v_mul_f16_sdwa v163, v30, v60 dst_sel:DWORD dst_unused:UNUSED_PAD src0_sel:WORD_1 src1_sel:DWORD
	v_add_f16_e32 v135, v154, v135
	v_fma_f16 v154, v29, 0x3722, -v161
	v_mul_f16_e32 v164, 0x3964, v28
	v_add_f16_e32 v157, v159, v157
	;; [unrolled: 6-line block ×3, first 2 shown]
	v_fmamk_f16 v159, v39, 0x39e9, v164
	v_mul_f16_e32 v165, 0xb5c8, v30
	v_add_f16_e32 v135, v154, v135
	v_fma_f16 v154, v33, 0xb8d2, -v103
	v_mul_f16_sdwa v166, v35, v113 dst_sel:DWORD dst_unused:UNUSED_PAD src0_sel:WORD_1 src1_sel:DWORD
	v_add_f16_e32 v157, v159, v157
	v_fmamk_f16 v159, v41, 0x3b76, v165
	v_mul_f16_e32 v167, 0xbbf7, v32
	v_fmamk_f16 v168, v43, 0x39e9, v141
	v_add_f16_e32 v135, v154, v135
	v_fma_f16 v154, v37, 0x39e9, -v166
	v_add_f16_e32 v157, v159, v157
	v_fmamk_f16 v159, v42, 0x2de8, v167
	v_mul_f16_sdwa v169, v14, v70 dst_sel:DWORD dst_unused:UNUSED_PAD src0_sel:WORD_1 src1_sel:DWORD
	v_add_f16_e32 v70, v168, v90
	v_add_f16_e32 v90, v154, v135
	v_mul_f16_e32 v135, 0x39e9, v38
	v_add_f16_e32 v154, v159, v157
	v_mul_f16_e32 v159, 0x2de8, v18
	v_fma_f16 v157, v20, 0x3722, -v169
	v_mul_f16_sdwa v85, v23, v85 dst_sel:DWORD dst_unused:UNUSED_PAD src0_sel:WORD_1 src1_sel:DWORD
	v_add_f16_e32 v61, v61, v135
	v_mul_f16_e32 v170, 0xb836, v35
	v_add_f16_e32 v62, v62, v159
	v_mul_f16_e32 v159, 0xb8d2, v40
	v_add_f16_e32 v157, v157, v6
	v_add_f16_sdwa v61, v61, v6 dst_sel:DWORD dst_unused:UNUSED_PAD src0_sel:DWORD src1_sel:WORD_1
	v_fma_f16 v168, v34, 0xb8d2, -v85
	v_mov_b32_e32 v135, 0x31e1
	v_add_f16_e32 v66, v66, v159
	v_mul_f16_e32 v159, 0xbbdd, v36
	v_add_f16_e32 v61, v62, v61
	v_add_f16_e32 v157, v168, v157
	v_fmamk_f16 v168, v43, 0xbacd, v170
	v_mul_f16_sdwa v135, v19, v135 dst_sel:DWORD dst_unused:UNUSED_PAD src0_sel:WORD_1 src1_sel:DWORD
	v_add_f16_e32 v67, v67, v159
	v_add_f16_e32 v66, v66, v61
	v_mul_f16_sdwa v116, v22, v116 dst_sel:DWORD dst_unused:UNUSED_PAD src0_sel:WORD_1 src1_sel:DWORD
	v_add_f16_e32 v61, v168, v154
	v_mul_f16_e32 v154, 0xbacd, v39
	v_fma_f16 v62, v21, 0xbbdd, -v135
	v_add_f16_e32 v66, v67, v66
	v_mul_f16_e32 v67, 0x3b76, v20
	v_mul_f16_sdwa v113, v28, v113 dst_sel:DWORD dst_unused:UNUSED_PAD src0_sel:WORD_1 src1_sel:DWORD
	v_add_f16_e32 v65, v65, v154
	v_mul_f16_e32 v154, 0x39e9, v34
	v_add_f16_e32 v62, v62, v157
	v_sub_f16_e32 v45, v67, v45
	v_mul_f16_e32 v67, 0xb461, v41
	v_fma_f16 v157, v27, 0xb461, -v116
	v_sub_f16_e32 v46, v154, v46
	v_add_f16_e32 v65, v65, v66
	v_add_f16_e32 v45, v45, v6
	;; [unrolled: 1-line block ×3, first 2 shown]
	v_mul_f16_e32 v67, 0x3722, v21
	v_add_f16_e32 v62, v157, v62
	v_fma_f16 v157, v29, 0x39e9, -v113
	v_add_f16_e32 v45, v46, v45
	v_mul_f16_sdwa v46, v32, v50 dst_sel:DWORD dst_unused:UNUSED_PAD src0_sel:WORD_1 src1_sel:DWORD
	v_mul_f16_e32 v50, 0x3722, v42
	v_mul_f16_sdwa v44, v30, v44 dst_sel:DWORD dst_unused:UNUSED_PAD src0_sel:WORD_1 src1_sel:DWORD
	v_sub_f16_e32 v47, v67, v47
	v_mul_f16_e32 v67, 0x2de8, v27
	v_add_f16_e32 v65, v66, v65
	v_add_f16_e32 v50, v82, v50
	;; [unrolled: 1-line block ×3, first 2 shown]
	v_fma_f16 v157, v31, 0x3b76, -v44
	v_add_f16_e32 v45, v47, v45
	v_sub_f16_e32 v47, v67, v49
	v_mul_f16_e32 v49, 0xb461, v29
	v_add_f16_e32 v50, v50, v65
	v_mul_f16_e32 v65, 0x3b76, v43
	v_add_f16_e32 v62, v157, v62
	v_fma_f16 v66, v33, 0x2de8, -v46
	v_add_f16_e32 v45, v47, v45
	v_sub_f16_e32 v47, v49, v53
	v_mul_f16_sdwa v49, v35, v60 dst_sel:DWORD dst_unused:UNUSED_PAD src0_sel:WORD_1 src1_sel:DWORD
	v_mul_f16_e32 v53, 0xb8d2, v31
	v_add_f16_e32 v60, v86, v65
	v_fma_f16 v65, v38, 0xbacd, -v98
	v_add_f16_e32 v62, v66, v62
	v_add_f16_e32 v45, v47, v45
	v_sub_f16_e32 v48, v53, v48
	v_mul_f16_e32 v53, 0xbacd, v33
	v_add_f16_sdwa v65, v65, v6 dst_sel:DWORD dst_unused:UNUSED_PAD src0_sel:DWORD src1_sel:WORD_1
	v_fma_f16 v66, v18, 0x3722, -v99
	v_fma_f16 v47, v37, 0xbacd, -v49
	v_add_f16_e32 v45, v48, v45
	v_sub_f16_e32 v48, v53, v57
	v_fma_f16 v57, v40, 0x2de8, -v101
	v_add_f16_e32 v53, v66, v65
	v_add_f16_e32 v47, v47, v62
	v_mul_f16_e32 v62, 0xbbdd, v37
	v_fmac_f16_e32 v91, 0xbacd, v20
	v_add_f16_e32 v45, v48, v45
	v_add_f16_e32 v53, v57, v53
	v_fma_f16 v57, v36, 0xb8d2, -v102
	v_sub_f16_e32 v48, v62, v74
	v_add_f16_e32 v62, v91, v6
	v_fmac_f16_e32 v105, 0x3722, v34
	v_fmac_f16_e32 v92, 0x2de8, v21
	v_add_f16_e32 v53, v57, v53
	v_fma_f16 v57, v39, 0x3b76, -v97
	v_fmac_f16_e32 v93, 0xb8d2, v27
	v_add_f16_e32 v62, v105, v62
	v_add_f16_e32 v45, v48, v45
	v_fma_f16 v48, v38, 0xb8d2, -v104
	v_add_f16_e32 v53, v57, v53
	v_fma_f16 v57, v41, 0xbbdd, -v96
	v_add_f16_e32 v62, v92, v62
	v_bfi_b32 v65, 0xffff, v69, v73
	v_fmac_f16_e32 v108, 0x3b76, v29
	v_add_f16_sdwa v48, v48, v6 dst_sel:DWORD dst_unused:UNUSED_PAD src0_sel:DWORD src1_sel:WORD_1
	v_add_f16_e32 v53, v57, v53
	v_fma_f16 v57, v42, 0x39e9, -v94
	v_add_f16_e32 v62, v93, v62
	v_fma_f16 v69, v18, 0xb461, -v107
	v_fmac_f16_e32 v109, 0xb8d2, v20
	v_fmac_f16_e32 v121, 0xb461, v34
	v_add_f16_e32 v53, v57, v53
	v_fma_f16 v57, v43, 0xb461, -v106
	v_add_f16_e32 v48, v69, v48
	v_add_f16_e32 v69, v109, v6
	v_fmac_f16_e32 v123, 0x3b76, v21
	v_bfi_b32 v66, 0xffff, v71, v77
	v_add_f16_e32 v53, v57, v53
	v_add_f16_e32 v57, v108, v62
	v_fma_f16 v62, v40, 0x3b76, -v110
	v_add_f16_e32 v69, v121, v69
	v_fmac_f16_e32 v126, 0xbacd, v27
	v_fma_f16 v71, v38, 0xb461, -v122
	v_bfi_b32 v67, 0xffff, v72, v76
	v_add_f16_e32 v48, v62, v48
	v_fma_f16 v62, v36, 0xbacd, -v114
	v_add_f16_e32 v69, v123, v69
	v_fmac_f16_e32 v130, 0x2de8, v29
	v_add_f16_sdwa v71, v71, v6 dst_sel:DWORD dst_unused:UNUSED_PAD src0_sel:DWORD src1_sel:WORD_1
	v_fma_f16 v72, v18, 0xbacd, -v120
	v_add_f16_e32 v48, v62, v48
	v_fma_f16 v62, v39, 0x2de8, -v117
	v_add_f16_e32 v69, v126, v69
	v_fmac_f16_e32 v132, 0x39e9, v31
	v_add_f16_e32 v71, v72, v71
	v_fma_f16 v72, v40, 0x39e9, -v129
	v_add_f16_e32 v48, v62, v48
	v_fma_f16 v62, v41, 0x39e9, -v95
	v_add_f16_e32 v69, v130, v69
	v_fmac_f16_e32 v133, 0xbbdd, v33
	v_add_f16_e32 v71, v72, v71
	v_fma_f16 v72, v36, 0x3722, -v131
	v_add_f16_e32 v48, v62, v48
	v_fma_f16 v62, v42, 0xbbdd, -v118
	v_add_f16_e32 v69, v132, v69
	v_fmac_f16_e32 v119, 0xb461, v20
	v_fmac_f16_e32 v136, 0xbacd, v34
	v_fma_f16 v73, v38, 0x2de8, -v138
	v_add_f16_e32 v48, v62, v48
	v_fma_f16 v62, v43, 0x3722, -v124
	v_fmac_f16_e32 v139, 0x39e9, v21
	v_fma_f16 v74, v18, 0xbbdd, -v142
	v_add_f16_sdwa v73, v73, v6 dst_sel:DWORD dst_unused:UNUSED_PAD src0_sel:DWORD src1_sel:WORD_1
	v_fmac_f16_e32 v143, 0x3722, v27
	v_add_f16_e32 v48, v62, v48
	v_add_f16_e32 v62, v133, v69
	;; [unrolled: 1-line block ×3, first 2 shown]
	v_fma_f16 v71, v39, 0xbbdd, -v128
	v_add_f16_e32 v72, v119, v6
	v_add_f16_e32 v73, v74, v73
	v_fma_f16 v74, v40, 0xb461, -v145
	v_fmac_f16_e32 v146, 0xbbdd, v29
	v_add_f16_e32 v69, v71, v69
	v_fma_f16 v71, v41, 0x2de8, -v134
	v_add_f16_e32 v72, v136, v72
	v_add_f16_e32 v73, v74, v73
	v_fma_f16 v74, v36, 0x3b76, -v147
	v_fmac_f16_e32 v153, 0x2de8, v20
	v_add_f16_e32 v69, v71, v69
	v_fma_f16 v71, v42, 0x3b76, -v125
	v_add_f16_e32 v72, v139, v72
	v_fma_f16 v38, v38, 0x3722, -v144
	v_fmac_f16_e32 v169, 0x3722, v20
	v_pk_add_f16 v10, v10, v88
	v_add_f16_e32 v69, v71, v69
	v_fma_f16 v71, v43, 0xb8d2, -v137
	v_add_f16_e32 v72, v143, v72
	v_add_f16_sdwa v38, v38, v6 dst_sel:DWORD dst_unused:UNUSED_PAD src0_sel:DWORD src1_sel:WORD_1
	v_fmac_f16_e32 v85, 0xb8d2, v34
	v_pk_add_f16 v10, v11, v10
	v_add_f16_e32 v69, v71, v69
	v_add_f16_e32 v71, v146, v72
	;; [unrolled: 1-line block ×6, first 2 shown]
	v_bfi_b32 v60, 0xffff, v64, v83
	v_bfi_b32 v64, 0xffff, v75, v84
	v_fma_f16 v75, v18, 0xb8d2, -v158
	v_add_f16_e32 v6, v85, v6
	v_fmac_f16_e32 v135, 0xbbdd, v21
	v_pk_add_f16 v8, v8, v10
	v_fma_f16 v40, v40, 0xbbdd, -v160
	v_add_f16_e32 v38, v75, v38
	v_fmac_f16_e32 v116, 0xb461, v27
	v_add_f16_e32 v6, v135, v6
	v_pk_add_f16 v8, v9, v8
	v_fma_f16 v36, v36, 0xb461, -v162
	v_add_f16_e32 v38, v40, v38
	v_fmac_f16_e32 v113, 0x39e9, v29
	v_add_f16_e32 v6, v116, v6
	v_pk_add_f16 v4, v4, v8
	v_bfi_b32 v58, 0xffff, v58, v78
	v_add_f16_e32 v11, v36, v38
	v_fma_f16 v10, v39, 0x39e9, -v164
	v_add_f16_e32 v6, v113, v6
	v_pk_add_f16 v4, v5, v4
	v_fmac_f16_e32 v44, 0x3b76, v31
	v_bfi_b32 v59, 0xffff, v59, v81
	v_add_f16_e32 v9, v10, v11
	v_fma_f16 v10, v41, 0x3b76, -v165
	v_pk_add_f16 v2, v2, v4
	v_add_f16_e32 v4, v44, v6
	v_pk_add_f16 v6, v58, v63
	v_pk_mul_f16 v11, 0xbacd, v21 op_sel_hi:[0,1]
	v_add_f16_e32 v8, v10, v9
	v_fma_f16 v9, v42, 0x2de8, -v167
	v_pk_add_f16 v2, v3, v2
	v_mul_lo_u16 v3, v52, 17
	v_pk_add_f16 v6, v59, v6
	v_fma_f16 v73, v39, 0x3722, -v148
	v_add_f16_e32 v8, v9, v8
	v_fma_f16 v9, v43, 0xbacd, -v170
	v_pk_add_f16 v0, v0, v2
	v_and_b32_e32 v2, 0xffff, v3
	v_pk_add_f16 v3, v60, v6
	v_pk_mul_f16 v6, 0xbbdd, v20 op_sel_hi:[0,1]
	v_add_f16_e32 v8, v9, v8
	v_pk_add_f16 v0, v1, v0
	v_add_lshl_u32 v1, v16, v2, 2
	v_pk_add_f16 v2, v64, v3
	v_pk_fma_f16 v3, 0xb1e1, v14, v6 op_sel:[0,0,1] op_sel_hi:[0,1,0] neg_lo:[0,1,0] neg_hi:[0,1,0]
	v_pk_mul_f16 v9, 0x35c8, v23 op_sel_hi:[0,1]
	v_pk_fma_f16 v6, 0xb1e1, v14, v6 op_sel:[0,0,1] op_sel_hi:[0,1,0]
	v_fmac_f16_e32 v140, 0xbbdd, v34
	v_pk_mul_f16 v14, 0x39e9, v27 op_sel_hi:[0,1]
	v_pk_add_f16 v3, v3, v63
	v_pk_fma_f16 v10, 0x3b76, v18, v9 op_sel_hi:[0,1,1] neg_lo:[0,0,1] neg_hi:[0,0,1]
	v_pk_add_f16 v6, v6, v63
	v_pk_fma_f16 v9, 0x3b76, v18, v9 op_sel_hi:[0,1,1]
	v_add_f16_e32 v72, v73, v72
	v_fma_f16 v73, v41, 0xbacd, -v150
	v_pk_add_f16 v3, v10, v3
	v_pk_fma_f16 v10, 0xb836, v19, v11 op_sel:[0,0,1] op_sel_hi:[0,1,0] neg_lo:[0,1,0] neg_hi:[0,1,0]
	v_pk_add_f16 v6, v9, v6
	v_pk_fma_f16 v9, 0xb836, v19, v11 op_sel:[0,0,1] op_sel_hi:[0,1,0]
	v_add_f16_e32 v74, v140, v74
	v_fmac_f16_e32 v155, 0xb461, v21
	v_pk_add_f16 v3, v10, v3
	v_pk_fma_f16 v10, 0x3964, v22, v14 op_sel:[0,0,1] op_sel_hi:[0,1,0] neg_lo:[0,1,0] neg_hi:[0,1,0]
	v_pk_mul_f16 v11, 0xb8d2, v29 op_sel_hi:[0,1]
	v_pk_add_f16 v6, v9, v6
	v_pk_fma_f16 v9, 0x3964, v22, v14 op_sel:[0,0,1] op_sel_hi:[0,1,0]
	v_add_f16_e32 v72, v73, v72
	v_fma_f16 v73, v42, 0xb8d2, -v152
	v_add_f16_e32 v74, v155, v74
	v_fmac_f16_e32 v156, 0x3b76, v27
	v_pk_add_f16 v2, v65, v2
	v_pk_add_f16 v3, v10, v3
	v_pk_fma_f16 v10, 0xba62, v28, v11 op_sel:[0,0,1] op_sel_hi:[0,1,0] neg_lo:[0,1,0] neg_hi:[0,1,0]
	v_pk_mul_f16 v14, 0x3722, v31 op_sel_hi:[0,1]
	v_pk_add_f16 v6, v9, v6
	v_pk_fma_f16 v9, 0xba62, v28, v11 op_sel:[0,0,1] op_sel_hi:[0,1,0]
	v_add_f16_e32 v72, v73, v72
	v_fma_f16 v73, v43, 0x39e9, -v141
	v_add_f16_e32 v74, v156, v74
	v_fmac_f16_e32 v161, 0x3722, v29
	v_pk_add_f16 v0, v17, v0
	v_pk_add_f16 v2, v66, v2
	;; [unrolled: 1-line block ×3, first 2 shown]
	v_pk_fma_f16 v10, 0x3b29, v30, v14 op_sel:[0,0,1] op_sel_hi:[0,1,0] neg_lo:[0,1,0] neg_hi:[0,1,0]
	v_pk_mul_f16 v17, 0xb461, v33 op_sel_hi:[0,1]
	v_pk_add_f16 v6, v9, v6
	v_pk_fma_f16 v9, 0x3b29, v30, v14 op_sel:[0,0,1] op_sel_hi:[0,1,0]
	v_fmac_f16_e32 v112, 0xbbdd, v31
	v_fmac_f16_e32 v127, 0x2de8, v31
	v_add_f16_e32 v72, v73, v72
	v_add_f16_e32 v73, v161, v74
	v_fmac_f16_e32 v163, 0xbacd, v31
	v_bfi_b32 v68, 0xffff, v79, v80
	v_pk_add_f16 v2, v67, v2
	v_pk_add_f16 v3, v10, v3
	v_pk_fma_f16 v10, 0xbbb2, v32, v17 op_sel:[0,0,1] op_sel_hi:[0,1,0] neg_lo:[0,1,0] neg_hi:[0,1,0]
	v_pk_mul_f16 v14, 0x2de8, v37 op_sel_hi:[0,1]
	v_pk_add_f16 v6, v9, v6
	v_pk_fma_f16 v9, 0xbbb2, v32, v17 op_sel:[0,0,1] op_sel_hi:[0,1,0]
	v_add_f16_e32 v57, v112, v57
	v_fmac_f16_e32 v115, 0x39e9, v33
	v_add_f16_e32 v71, v127, v71
	v_fmac_f16_e32 v149, 0x3b76, v33
	;; [unrolled: 2-line block ×3, first 2 shown]
	v_fmac_f16_e32 v46, 0x2de8, v33
	v_pk_add_f16 v2, v68, v2
	v_pk_add_f16 v3, v10, v3
	v_pk_fma_f16 v10, 0x3bf7, v35, v14 op_sel:[0,0,1] op_sel_hi:[0,1,0] neg_lo:[0,1,0] neg_hi:[0,1,0]
	v_pk_add_f16 v6, v9, v6
	v_pk_fma_f16 v9, 0x3bf7, v35, v14 op_sel:[0,0,1] op_sel_hi:[0,1,0]
	v_add_f16_e32 v57, v115, v57
	v_fmac_f16_e32 v111, 0xb461, v37
	v_fmac_f16_e32 v100, 0x3722, v37
	v_add_f16_e32 v71, v149, v71
	v_fmac_f16_e32 v151, 0xb8d2, v37
	v_add_f16_e32 v34, v103, v34
	;; [unrolled: 2-line block ×3, first 2 shown]
	v_fmac_f16_e32 v49, 0xbacd, v37
	v_alignbit_b32 v11, v50, v2, 16
	v_pack_b32_f16 v2, v45, v2
	v_pk_add_f16 v3, v10, v3
	v_pk_add_f16 v6, v9, v6
	v_add_f16_e32 v57, v111, v57
	v_add_f16_e32 v62, v100, v62
	v_pack_b32_f16 v17, v90, v70
	v_pack_b32_f16 v18, v47, v61
	v_add_f16_e32 v71, v151, v71
	v_add_f16_e32 v5, v166, v34
	v_pack_b32_f16 v13, v15, v13
	v_pack_b32_f16 v14, v89, v87
	v_add_f16_e32 v4, v49, v4
	v_pack_b32_f16 v7, v12, v7
	ds_write2_b32 v1, v2, v11 offset0:1 offset1:2
	ds_write2_b32 v1, v18, v17 offset0:3 offset1:4
	;; [unrolled: 1-line block ×3, first 2 shown]
	ds_write2_b32 v1, v0, v7 offset1:7
	v_alignbit_b32 v0, v3, v6, 16
	v_alignbit_b32 v2, v6, v3, 16
	v_pack_b32_f16 v3, v62, v48
	v_pack_b32_f16 v6, v57, v53
	;; [unrolled: 1-line block ×5, first 2 shown]
	v_perm_b32 v8, v56, v25, 0x5040100
	v_perm_b32 v9, v55, v26, 0x5040100
	ds_write2_b32 v1, v2, v0 offset0:8 offset1:9
	ds_write2_b32 v1, v6, v3 offset0:10 offset1:11
	ds_write2_b32 v1, v7, v5 offset0:12 offset1:13
	ds_write2_b32 v1, v4, v8 offset0:14 offset1:15
	ds_write_b32 v1, v9 offset:64
.LBB0_7:
	s_or_b32 exec_lo, exec_lo, s4
	v_and_b32_e32 v0, 0xff, v52
	v_add_co_u32 v13, null, 0x55, v52
	v_add_co_u32 v12, null, 0xaa, v52
	v_mul_lo_u16 v0, 0xf1, v0
	v_and_b32_e32 v17, 0xff, v13
	v_mov_b32_e32 v1, 0xf0f1
	v_and_b32_e32 v18, 0xff, v12
	v_add_co_u32 v5, null, 0x154, v52
	v_lshrrev_b16 v21, 12, v0
	v_add_co_u32 v0, null, 0xff, v52
	v_mul_lo_u16 v3, 0xf1, v17
	s_load_dwordx4 s[4:7], s[0:1], 0x0
	v_mul_lo_u16 v2, v21, 17
	v_mul_u32_u24_sdwa v4, v0, v1 dst_sel:DWORD dst_unused:UNUSED_PAD src0_sel:WORD_0 src1_sel:DWORD
	v_mul_u32_u24_sdwa v1, v5, v1 dst_sel:DWORD dst_unused:UNUSED_PAD src0_sel:WORD_0 src1_sel:DWORD
	v_lshrrev_b16 v23, 12, v3
	v_mov_b32_e32 v3, 3
	v_sub_nc_u16 v22, v52, v2
	v_mul_lo_u16 v2, 0xf1, v18
	v_lshrrev_b32_e32 v37, 20, v4
	v_mul_lo_u16 v4, v23, 17
	v_lshrrev_b32_e32 v39, 20, v1
	v_lshlrev_b32_sdwa v6, v3, v22 dst_sel:DWORD dst_unused:UNUSED_PAD src0_sel:DWORD src1_sel:BYTE_0
	v_lshrrev_b16 v38, 12, v2
	v_mul_lo_u16 v2, v37, 17
	v_sub_nc_u16 v40, v13, v4
	s_waitcnt lgkmcnt(0)
	s_barrier
	v_mul_lo_u16 v1, v38, 17
	v_sub_nc_u16 v46, v0, v2
	v_mul_lo_u16 v0, v39, 17
	buffer_gl0_inv
	global_load_dwordx2 v[35:36], v6, s[2:3]
	v_sub_nc_u16 v47, v12, v1
	v_lshlrev_b32_sdwa v1, v3, v40 dst_sel:DWORD dst_unused:UNUSED_PAD src0_sel:DWORD src1_sel:BYTE_0
	v_sub_nc_u16 v48, v5, v0
	v_lshlrev_b16 v2, 1, v46
	v_mov_b32_e32 v0, 2
	v_lshlrev_b32_sdwa v3, v3, v47 dst_sel:DWORD dst_unused:UNUSED_PAD src0_sel:DWORD src1_sel:BYTE_0
	global_load_dwordx2 v[33:34], v1, s[2:3]
	v_add_lshl_u32 v57, v16, v52, 2
	v_add_co_u32 v4, s0, 0xffffffcd, v52
	global_load_dwordx2 v[31:32], v3, s[2:3]
	v_lshlrev_b16 v1, 1, v48
	v_lshlrev_b32_sdwa v2, v0, v2 dst_sel:DWORD dst_unused:UNUSED_PAD src0_sel:DWORD src1_sel:WORD_0
	v_add_co_ci_u32_e64 v5, null, 0, -1, s0
	v_add_nc_u32_e32 v42, 0x400, v57
	v_lshlrev_b32_sdwa v0, v0, v1 dst_sel:DWORD dst_unused:UNUSED_PAD src0_sel:DWORD src1_sel:WORD_0
	s_clause 0x1
	global_load_dwordx2 v[29:30], v2, s[2:3]
	global_load_dwordx2 v[27:28], v0, s[2:3]
	v_cmp_gt_u16_e64 s0, 51, v52
	v_add_nc_u32_e32 v41, 0xc00, v57
	v_add_nc_u32_e32 v43, 0x600, v57
	;; [unrolled: 1-line block ×3, first 2 shown]
	ds_read2_b32 v[0:1], v57 offset1:85
	ds_read2_b32 v[2:3], v57 offset0:170 offset1:255
	ds_read_b32 v53, v57 offset:4760
	v_cndmask_b32_e64 v15, v5, 0, s0
	v_cndmask_b32_e64 v14, v4, v52, s0
	ds_read2_b32 v[4:5], v42 offset0:84 offset1:169
	ds_read2_b32 v[6:7], v41 offset0:82 offset1:167
	;; [unrolled: 1-line block ×4, first 2 shown]
	v_add_nc_u32_e32 v45, 0x800, v57
	v_mov_b32_e32 v49, 51
	v_mul_lo_u16 v58, 0xa1, v17
	v_mul_lo_u16 v59, 0xa1, v18
	v_lshlrev_b64 v[17:18], 4, v[14:15]
	ds_read2_b32 v[19:20], v45 offset0:168 offset1:253
	v_mul_u32_u24_sdwa v15, v21, v49 dst_sel:DWORD dst_unused:UNUSED_PAD src0_sel:WORD_0 src1_sel:DWORD
	v_lshrrev_b16 v21, 13, v58
	v_mul_u32_u24_sdwa v23, v23, v49 dst_sel:DWORD dst_unused:UNUSED_PAD src0_sel:WORD_0 src1_sel:DWORD
	v_mul_u32_u24_sdwa v38, v38, v49 dst_sel:DWORD dst_unused:UNUSED_PAD src0_sel:WORD_0 src1_sel:DWORD
	v_lshrrev_b16 v58, 13, v59
	v_add_nc_u32_sdwa v15, v15, v22 dst_sel:DWORD dst_unused:UNUSED_PAD src0_sel:DWORD src1_sel:BYTE_0
	v_mad_u16 v22, v37, 51, v46
	v_mul_lo_u16 v49, v21, 51
	v_mad_u16 v37, v39, 51, v48
	s_waitcnt lgkmcnt(7)
	v_lshrrev_b32_e32 v59, 16, v0
	s_waitcnt lgkmcnt(4)
	v_lshrrev_b32_e32 v39, 16, v5
	;; [unrolled: 2-line block ×3, first 2 shown]
	v_add_lshl_u32 v64, v16, v15, 2
	v_add_nc_u32_sdwa v15, v23, v40 dst_sel:DWORD dst_unused:UNUSED_PAD src0_sel:DWORD src1_sel:BYTE_0
	v_add_nc_u32_sdwa v23, v38, v47 dst_sel:DWORD dst_unused:UNUSED_PAD src0_sel:DWORD src1_sel:BYTE_0
	v_and_b32_e32 v22, 0xffff, v22
	v_sub_nc_u16 v48, v13, v49
	s_waitcnt lgkmcnt(2)
	v_lshrrev_b32_e32 v49, 16, v8
	v_lshrrev_b32_e32 v69, 16, v7
	v_lshrrev_b32_e32 v70, 16, v9
	s_waitcnt lgkmcnt(1)
	v_lshrrev_b32_e32 v71, 16, v10
	v_and_b32_e32 v37, 0xffff, v37
	v_add_lshl_u32 v65, v16, v15, 2
	v_add_lshl_u32 v62, v16, v23, 2
	;; [unrolled: 1-line block ×3, first 2 shown]
	s_waitcnt lgkmcnt(0)
	v_lshrrev_b32_e32 v72, 16, v19
	v_lshrrev_b32_e32 v73, 16, v11
	;; [unrolled: 1-line block ×4, first 2 shown]
	v_add_lshl_u32 v63, v16, v37, 2
	v_lshrrev_b32_e32 v60, 16, v1
	v_lshrrev_b32_e32 v74, 16, v4
	;; [unrolled: 1-line block ×4, first 2 shown]
	s_waitcnt vmcnt(0)
	s_barrier
	buffer_gl0_inv
	v_mov_b32_e32 v50, 4
	v_add_co_u32 v17, s0, s2, v17
	v_add_co_ci_u32_e64 v18, s0, s3, v18, s0
	v_cmp_lt_u16_e64 s0, 50, v52
	v_lshlrev_b32_e32 v13, 4, v13
	v_mul_f16_sdwa v15, v39, v35 dst_sel:DWORD dst_unused:UNUSED_PAD src0_sel:DWORD src1_sel:WORD_1
	v_mul_f16_sdwa v22, v5, v35 dst_sel:DWORD dst_unused:UNUSED_PAD src0_sel:DWORD src1_sel:WORD_1
	;; [unrolled: 1-line block ×4, first 2 shown]
	v_fma_f16 v5, v5, v35, -v15
	v_fmac_f16_e32 v22, v39, v35
	v_fma_f16 v6, v6, v36, -v23
	v_fmac_f16_e32 v38, v46, v36
	v_mul_f16_sdwa v15, v49, v33 dst_sel:DWORD dst_unused:UNUSED_PAD src0_sel:DWORD src1_sel:WORD_1
	v_mul_f16_sdwa v23, v8, v33 dst_sel:DWORD dst_unused:UNUSED_PAD src0_sel:DWORD src1_sel:WORD_1
	;; [unrolled: 1-line block ×8, first 2 shown]
	v_fma_f16 v8, v8, v33, -v15
	v_fmac_f16_e32 v23, v49, v33
	v_fma_f16 v7, v7, v34, -v37
	v_mul_f16_sdwa v77, v72, v29 dst_sel:DWORD dst_unused:UNUSED_PAD src0_sel:DWORD src1_sel:WORD_1
	v_mul_f16_sdwa v82, v20, v27 dst_sel:DWORD dst_unused:UNUSED_PAD src0_sel:DWORD src1_sel:WORD_1
	;; [unrolled: 1-line block ×8, first 2 shown]
	v_fmac_f16_e32 v39, v69, v34
	v_fma_f16 v9, v9, v31, -v40
	v_fma_f16 v10, v10, v32, -v47
	v_fmac_f16_e32 v82, v75, v27
	v_fmac_f16_e32 v84, v68, v28
	v_add_f16_e32 v37, v0, v5
	v_add_f16_e32 v40, v5, v6
	v_sub_f16_e32 v47, v22, v38
	v_add_f16_e32 v49, v59, v22
	v_add_f16_e32 v22, v22, v38
	v_fmac_f16_e32 v46, v70, v31
	v_fmac_f16_e32 v76, v71, v32
	v_fma_f16 v15, v19, v29, -v77
	v_fmac_f16_e32 v78, v72, v29
	v_fma_f16 v11, v11, v30, -v79
	v_fmac_f16_e32 v80, v73, v30
	v_fma_f16 v19, v20, v27, -v81
	v_fma_f16 v20, v53, v28, -v83
	v_sub_f16_e32 v5, v5, v6
	v_add_f16_e32 v6, v37, v6
	v_fma_f16 v0, -0.5, v40, v0
	v_add_f16_e32 v37, v49, v38
	v_fmac_f16_e32 v59, -0.5, v22
	v_add_f16_e32 v38, v8, v7
	v_sub_f16_e32 v40, v23, v39
	v_add_f16_e32 v49, v60, v23
	v_add_f16_e32 v23, v23, v39
	v_sub_f16_e32 v81, v82, v84
	v_add_f16_e32 v83, v74, v82
	v_add_f16_e32 v82, v82, v84
	;; [unrolled: 1-line block ×3, first 2 shown]
	v_sub_f16_e32 v69, v46, v76
	v_add_f16_e32 v70, v66, v46
	v_add_f16_e32 v46, v46, v76
	;; [unrolled: 1-line block ×5, first 2 shown]
	v_sub_f16_e32 v8, v8, v7
	v_sub_f16_e32 v73, v78, v80
	v_add_f16_e32 v75, v67, v78
	v_add_f16_e32 v78, v4, v19
	;; [unrolled: 1-line block ×3, first 2 shown]
	v_sub_f16_e32 v19, v19, v20
	v_fmamk_f16 v85, v47, 0x3aee, v0
	v_fmac_f16_e32 v0, 0xbaee, v47
	v_fmamk_f16 v47, v5, 0xbaee, v59
	v_fmac_f16_e32 v1, -0.5, v38
	v_fmac_f16_e32 v60, -0.5, v23
	;; [unrolled: 1-line block ×3, first 2 shown]
	v_fmac_f16_e32 v59, 0x3aee, v5
	v_add_f16_e32 v53, v2, v9
	v_sub_f16_e32 v9, v9, v10
	v_fma_f16 v2, -0.5, v68, v2
	v_fmac_f16_e32 v66, -0.5, v46
	v_add_f16_e32 v71, v3, v15
	v_sub_f16_e32 v15, v15, v11
	v_fmac_f16_e32 v3, -0.5, v72
	v_fmac_f16_e32 v67, -0.5, v77
	v_add_f16_e32 v5, v22, v7
	v_add_f16_e32 v7, v49, v39
	v_fmac_f16_e32 v4, -0.5, v79
	v_pack_b32_f16 v6, v6, v37
	v_fmamk_f16 v37, v40, 0x3aee, v1
	v_fmamk_f16 v39, v8, 0xbaee, v60
	;; [unrolled: 1-line block ×3, first 2 shown]
	v_fmac_f16_e32 v74, 0x3aee, v19
	v_pack_b32_f16 v19, v85, v47
	v_fmac_f16_e32 v1, 0xbaee, v40
	v_fmac_f16_e32 v60, 0x3aee, v8
	v_pack_b32_f16 v0, v0, v59
	v_add_f16_e32 v10, v53, v10
	v_add_f16_e32 v22, v70, v76
	v_fmamk_f16 v8, v69, 0x3aee, v2
	v_fmamk_f16 v40, v9, 0xbaee, v66
	v_fmac_f16_e32 v2, 0xbaee, v69
	v_fmac_f16_e32 v66, 0x3aee, v9
	v_add_f16_e32 v11, v71, v11
	v_add_f16_e32 v23, v75, v80
	v_fmamk_f16 v9, v73, 0x3aee, v3
	v_fmamk_f16 v46, v15, 0xbaee, v67
	v_add_f16_e32 v20, v78, v20
	v_add_f16_e32 v38, v83, v84
	v_fmac_f16_e32 v3, 0xbaee, v73
	v_fmac_f16_e32 v67, 0x3aee, v15
	v_fmamk_f16 v15, v81, 0x3aee, v4
	v_fmac_f16_e32 v4, 0xbaee, v81
	v_pack_b32_f16 v5, v5, v7
	ds_write2_b32 v64, v6, v19 offset1:17
	ds_write_b32 v64, v0 offset:136
	v_pack_b32_f16 v0, v37, v39
	v_pack_b32_f16 v1, v1, v60
	;; [unrolled: 1-line block ×11, first 2 shown]
	ds_write2_b32 v65, v5, v0 offset1:17
	ds_write_b32 v65, v1 offset:136
	ds_write2_b32 v62, v7, v6 offset1:17
	ds_write_b32 v62, v2 offset:136
	;; [unrolled: 2-line block ×4, first 2 shown]
	v_mul_lo_u16 v0, v58, 51
	v_lshlrev_b32_sdwa v1, v50, v48 dst_sel:DWORD dst_unused:UNUSED_PAD src0_sel:DWORD src1_sel:BYTE_0
	s_waitcnt lgkmcnt(0)
	s_barrier
	buffer_gl0_inv
	v_sub_nc_u16 v23, v12, v0
	s_clause 0x1
	global_load_dwordx4 v[8:11], v[17:18], off offset:136
	global_load_dwordx4 v[4:7], v1, s[2:3] offset:136
	v_cndmask_b32_e64 v49, 0, 0xff, s0
	v_mov_b32_e32 v15, 0xff
	v_lshlrev_b32_sdwa v0, v50, v23 dst_sel:DWORD dst_unused:UNUSED_PAD src0_sel:DWORD src1_sel:BYTE_0
	v_lshlrev_b32_e32 v12, 4, v12
	v_add_nc_u32_e32 v49, v14, v49
	v_mul_u32_u24_sdwa v50, v21, v15 dst_sel:DWORD dst_unused:UNUSED_PAD src0_sel:WORD_0 src1_sel:DWORD
	global_load_dwordx4 v[0:3], v0, s[2:3] offset:136
	ds_read2_b32 v[17:18], v57 offset1:85
	ds_read2_b32 v[19:20], v57 offset0:170 offset1:255
	ds_read2_b32 v[21:22], v43 offset0:126 offset1:211
	;; [unrolled: 1-line block ×4, first 2 shown]
	v_mul_u32_u24_sdwa v53, v58, v15 dst_sel:DWORD dst_unused:UNUSED_PAD src0_sel:WORD_0 src1_sel:DWORD
	ds_read2_b32 v[46:47], v42 offset0:84 offset1:169
	ds_read2_b32 v[14:15], v41 offset0:82 offset1:167
	v_add_lshl_u32 v60, v16, v49, 2
	ds_read_b32 v49, v57 offset:4760
	v_add_nc_u32_sdwa v48, v50, v48 dst_sel:DWORD dst_unused:UNUSED_PAD src0_sel:DWORD src1_sel:BYTE_0
	v_add_nc_u32_sdwa v23, v53, v23 dst_sel:DWORD dst_unused:UNUSED_PAD src0_sel:DWORD src1_sel:BYTE_0
	v_lshlrev_b32_e32 v50, 4, v52
	s_waitcnt vmcnt(0) lgkmcnt(0)
	s_barrier
	v_add_lshl_u32 v59, v16, v48, 2
	v_add_lshl_u32 v58, v16, v23, 2
	buffer_gl0_inv
	v_lshrrev_b32_e32 v16, 16, v17
	v_lshrrev_b32_e32 v23, 16, v20
	;; [unrolled: 1-line block ×15, first 2 shown]
	v_mul_f16_sdwa v77, v23, v8 dst_sel:DWORD dst_unused:UNUSED_PAD src0_sel:DWORD src1_sel:WORD_1
	v_mul_f16_sdwa v78, v20, v8 dst_sel:DWORD dst_unused:UNUSED_PAD src0_sel:DWORD src1_sel:WORD_1
	;; [unrolled: 1-line block ×24, first 2 shown]
	v_fma_f16 v20, v20, v8, -v77
	v_fmac_f16_e32 v78, v23, v8
	v_fma_f16 v21, v21, v9, -v79
	v_fmac_f16_e32 v80, v48, v9
	;; [unrolled: 2-line block ×12, first 2 shown]
	v_add_f16_e32 v48, v17, v20
	v_add_f16_e32 v49, v21, v23
	v_sub_f16_e32 v68, v20, v21
	v_sub_f16_e32 v69, v38, v23
	v_add_f16_e32 v70, v20, v38
	v_add_f16_e32 v74, v16, v78
	;; [unrolled: 1-line block ×4, first 2 shown]
	v_sub_f16_e32 v53, v78, v84
	v_sub_f16_e32 v71, v21, v20
	;; [unrolled: 1-line block ×7, first 2 shown]
	v_add_f16_e32 v85, v18, v39
	v_add_f16_e32 v87, v22, v14
	;; [unrolled: 1-line block ×10, first 2 shown]
	v_sub_f16_e32 v20, v20, v38
	v_sub_f16_e32 v76, v21, v23
	v_add_f16_e32 v109, v19, v46
	v_add_f16_e32 v118, v72, v94
	;; [unrolled: 1-line block ×3, first 2 shown]
	v_fma_f16 v48, -0.5, v49, v17
	v_add_f16_e32 v49, v68, v69
	v_fma_f16 v17, -0.5, v70, v17
	v_add_f16_e32 v69, v74, v80
	v_fma_f16 v70, -0.5, v75, v16
	v_sub_f16_e32 v66, v80, v82
	v_sub_f16_e32 v93, v39, v22
	;; [unrolled: 1-line block ×3, first 2 shown]
	v_fmac_f16_e32 v16, -0.5, v81
	v_sub_f16_e32 v89, v86, v92
	v_sub_f16_e32 v99, v22, v39
	;; [unrolled: 1-line block ×4, first 2 shown]
	v_add_f16_e32 v68, v71, v73
	v_add_f16_e32 v71, v77, v79
	;; [unrolled: 1-line block ×4, first 2 shown]
	v_fma_f16 v74, -0.5, v87, v18
	v_add_f16_e32 v78, v102, v88
	v_fma_f16 v79, -0.5, v103, v67
	v_sub_f16_e32 v91, v88, v90
	v_sub_f16_e32 v101, v14, v40
	;; [unrolled: 1-line block ×6, first 2 shown]
	v_fmac_f16_e32 v18, -0.5, v97
	v_fmac_f16_e32 v67, -0.5, v107
	v_fma_f16 v83, -0.5, v110, v19
	v_fmac_f16_e32 v19, -0.5, v115
	v_fma_f16 v88, -0.5, v119, v72
	v_fmac_f16_e32 v72, -0.5, v123
	v_sub_f16_e32 v111, v94, v100
	v_sub_f16_e32 v113, v46, v37
	;; [unrolled: 1-line block ×4, first 2 shown]
	v_add_f16_e32 v37, v109, v37
	v_add_f16_e32 v87, v118, v96
	;; [unrolled: 1-line block ×3, first 2 shown]
	v_fmamk_f16 v23, v53, 0x3b9c, v48
	v_add_f16_e32 v69, v69, v82
	v_fmamk_f16 v82, v20, 0xbb9c, v70
	v_sub_f16_e32 v121, v94, v96
	v_sub_f16_e32 v94, v96, v94
	v_add_f16_e32 v75, v93, v95
	v_fmamk_f16 v95, v66, 0xbb9c, v17
	v_fmac_f16_e32 v17, 0x3b9c, v66
	v_fmamk_f16 v96, v76, 0x3b9c, v16
	v_fmac_f16_e32 v16, 0xbb9c, v76
	v_fmac_f16_e32 v48, 0xbb9c, v53
	;; [unrolled: 1-line block ×3, first 2 shown]
	v_sub_f16_e32 v106, v92, v90
	v_sub_f16_e32 v108, v90, v92
	v_add_f16_e32 v14, v22, v14
	v_fmamk_f16 v22, v89, 0x3b9c, v74
	v_add_f16_e32 v78, v78, v90
	v_fmamk_f16 v90, v39, 0xbb9c, v79
	v_sub_f16_e32 v117, v15, v47
	v_sub_f16_e32 v124, v98, v100
	v_add_f16_e32 v77, v99, v101
	v_fmamk_f16 v97, v91, 0xbb9c, v18
	v_fmac_f16_e32 v18, 0x3b9c, v91
	v_fmamk_f16 v99, v104, 0x3b9c, v67
	v_fmac_f16_e32 v67, 0xbb9c, v104
	;; [unrolled: 2-line block ×4, first 2 shown]
	v_sub_f16_e32 v114, v47, v15
	v_sub_f16_e32 v122, v100, v98
	v_fmac_f16_e32 v74, 0xbb9c, v89
	v_fmac_f16_e32 v79, 0x3b9c, v39
	v_add_f16_e32 v15, v37, v15
	v_fmamk_f16 v37, v111, 0x3b9c, v83
	v_fmac_f16_e32 v83, 0xbb9c, v111
	v_add_f16_e32 v87, v87, v98
	v_fmamk_f16 v98, v46, 0xbb9c, v88
	v_fmac_f16_e32 v88, 0x3b9c, v46
	v_fmac_f16_e32 v23, 0x38b4, v66
	;; [unrolled: 1-line block ×9, first 2 shown]
	v_add_f16_e32 v80, v105, v106
	v_fmac_f16_e32 v22, 0x38b4, v91
	v_fmac_f16_e32 v90, 0xb8b4, v104
	v_add_f16_e32 v81, v86, v108
	v_add_f16_e32 v86, v116, v117
	;; [unrolled: 1-line block ×3, first 2 shown]
	v_fmac_f16_e32 v97, 0x38b4, v89
	v_fmac_f16_e32 v18, 0xb8b4, v89
	;; [unrolled: 1-line block ×6, first 2 shown]
	v_add_f16_e32 v85, v113, v114
	v_add_f16_e32 v93, v121, v122
	;; [unrolled: 1-line block ×5, first 2 shown]
	v_fmac_f16_e32 v74, 0xb8b4, v91
	v_add_f16_e32 v20, v78, v92
	v_fmac_f16_e32 v79, 0x38b4, v104
	v_fmac_f16_e32 v37, 0x38b4, v112
	;; [unrolled: 1-line block ×23, first 2 shown]
	v_add_f16_e32 v15, v15, v47
	v_add_f16_e32 v39, v87, v100
	v_fmac_f16_e32 v74, 0x34f2, v75
	v_fmac_f16_e32 v79, 0x34f2, v80
	;; [unrolled: 1-line block ×8, first 2 shown]
	v_pack_b32_f16 v21, v21, v38
	v_pack_b32_f16 v14, v14, v20
	;; [unrolled: 1-line block ×15, first 2 shown]
	ds_write2_b32 v60, v21, v20 offset1:51
	ds_write2_b32 v60, v23, v16 offset0:102 offset1:153
	ds_write_b32 v60, v17 offset:816
	ds_write2_b32 v59, v14, v22 offset1:51
	ds_write2_b32 v59, v38, v18 offset0:102 offset1:153
	ds_write_b32 v59, v39 offset:816
	;; [unrolled: 3-line block ×3, first 2 shown]
	s_waitcnt lgkmcnt(0)
	s_barrier
	buffer_gl0_inv
	s_clause 0x2
	global_load_dwordx4 v[20:23], v50, s[2:3] offset:952
	global_load_dwordx4 v[16:19], v13, s[2:3] offset:952
	;; [unrolled: 1-line block ×3, first 2 shown]
	ds_read2_b32 v[39:40], v57 offset1:85
	ds_read2_b32 v[37:38], v57 offset0:170 offset1:255
	ds_read2_b32 v[46:47], v43 offset0:126 offset1:211
	;; [unrolled: 1-line block ×6, first 2 shown]
	ds_read_b32 v45, v57 offset:4760
	v_lshl_add_u32 v53, v52, 2, v54
	v_lshl_add_u32 v66, v52, 2, v54
	v_add_nc_u32_e32 v67, 0x200, v53
	v_add_nc_u32_e32 v68, 0x400, v53
	;; [unrolled: 1-line block ×6, first 2 shown]
	s_waitcnt lgkmcnt(7)
	v_lshrrev_b32_e32 v73, 16, v39
	s_waitcnt lgkmcnt(6)
	v_lshrrev_b32_e32 v50, 16, v38
	;; [unrolled: 2-line block ×5, first 2 shown]
	v_lshrrev_b32_e32 v78, 16, v47
	s_waitcnt lgkmcnt(1)
	v_lshrrev_b32_e32 v79, 16, v41
	v_lshrrev_b32_e32 v77, 16, v69
	;; [unrolled: 1-line block ×6, first 2 shown]
	s_waitcnt lgkmcnt(0)
	v_lshrrev_b32_e32 v84, 16, v45
	v_lshrrev_b32_e32 v72, 16, v40
	;; [unrolled: 1-line block ×3, first 2 shown]
	s_waitcnt vmcnt(2)
	v_mul_f16_sdwa v89, v50, v20 dst_sel:DWORD dst_unused:UNUSED_PAD src0_sel:DWORD src1_sel:WORD_1
	v_mul_f16_sdwa v90, v38, v20 dst_sel:DWORD dst_unused:UNUSED_PAD src0_sel:DWORD src1_sel:WORD_1
	;; [unrolled: 1-line block ×7, first 2 shown]
	s_waitcnt vmcnt(1)
	v_mul_f16_sdwa v99, v78, v17 dst_sel:DWORD dst_unused:UNUSED_PAD src0_sel:DWORD src1_sel:WORD_1
	v_mul_f16_sdwa v100, v47, v17 dst_sel:DWORD dst_unused:UNUSED_PAD src0_sel:DWORD src1_sel:WORD_1
	v_mul_f16_sdwa v101, v79, v18 dst_sel:DWORD dst_unused:UNUSED_PAD src0_sel:DWORD src1_sel:WORD_1
	v_mul_f16_sdwa v102, v41, v18 dst_sel:DWORD dst_unused:UNUSED_PAD src0_sel:DWORD src1_sel:WORD_1
	v_mul_f16_sdwa v96, v43, v23 dst_sel:DWORD dst_unused:UNUSED_PAD src0_sel:DWORD src1_sel:WORD_1
	v_mul_f16_sdwa v97, v77, v16 dst_sel:DWORD dst_unused:UNUSED_PAD src0_sel:DWORD src1_sel:WORD_1
	v_mul_f16_sdwa v98, v69, v16 dst_sel:DWORD dst_unused:UNUSED_PAD src0_sel:DWORD src1_sel:WORD_1
	v_mul_f16_sdwa v103, v80, v19 dst_sel:DWORD dst_unused:UNUSED_PAD src0_sel:DWORD src1_sel:WORD_1
	v_mul_f16_sdwa v104, v44, v19 dst_sel:DWORD dst_unused:UNUSED_PAD src0_sel:DWORD src1_sel:WORD_1
	s_waitcnt vmcnt(0)
	v_mul_f16_sdwa v105, v81, v12 dst_sel:DWORD dst_unused:UNUSED_PAD src0_sel:DWORD src1_sel:WORD_1
	v_mul_f16_sdwa v106, v70, v12 dst_sel:DWORD dst_unused:UNUSED_PAD src0_sel:DWORD src1_sel:WORD_1
	;; [unrolled: 1-line block ×8, first 2 shown]
	v_fma_f16 v38, v38, v20, -v89
	v_fmac_f16_e32 v90, v50, v20
	v_fma_f16 v46, v46, v21, -v91
	v_fmac_f16_e32 v92, v74, v21
	;; [unrolled: 2-line block ×3, first 2 shown]
	v_fma_f16 v89, v43, v23, -v95
	v_fma_f16 v47, v47, v17, -v99
	v_fmac_f16_e32 v100, v78, v17
	v_fma_f16 v41, v41, v18, -v101
	v_fmac_f16_e32 v102, v79, v18
	v_fmac_f16_e32 v96, v76, v23
	v_fma_f16 v43, v69, v16, -v97
	v_fmac_f16_e32 v98, v77, v16
	v_fma_f16 v44, v44, v19, -v103
	;; [unrolled: 2-line block ×6, first 2 shown]
	v_fmac_f16_e32 v112, v84, v15
	v_add_f16_e32 v45, v39, v38
	v_add_f16_e32 v69, v46, v49
	v_sub_f16_e32 v74, v38, v46
	v_sub_f16_e32 v75, v89, v49
	v_add_f16_e32 v76, v38, v89
	v_sub_f16_e32 v77, v46, v38
	v_sub_f16_e32 v78, v49, v89
	v_add_f16_e32 v79, v73, v90
	v_add_f16_e32 v80, v92, v94
	;; [unrolled: 1-line block ×7, first 2 shown]
	v_sub_f16_e32 v91, v38, v89
	v_sub_f16_e32 v38, v90, v92
	;; [unrolled: 1-line block ×3, first 2 shown]
	v_add_f16_e32 v97, v40, v43
	v_add_f16_e32 v114, v72, v98
	;; [unrolled: 1-line block ×8, first 2 shown]
	v_sub_f16_e32 v70, v90, v96
	v_sub_f16_e32 v84, v92, v94
	;; [unrolled: 1-line block ×15, first 2 shown]
	v_add_f16_e32 v138, v45, v46
	v_fma_f16 v46, -0.5, v69, v39
	v_add_f16_e32 v139, v74, v75
	v_fma_f16 v45, -0.5, v76, v39
	v_add_f16_e32 v140, v77, v78
	v_add_f16_e32 v39, v79, v92
	v_fma_f16 v78, -0.5, v80, v73
	v_fma_f16 v43, -0.5, v99, v40
	;; [unrolled: 1-line block ×3, first 2 shown]
	v_sub_f16_e32 v103, v100, v102
	v_sub_f16_e32 v117, v47, v41
	v_fmac_f16_e32 v73, -0.5, v83
	v_fmac_f16_e32 v40, -0.5, v109
	;; [unrolled: 1-line block ×3, first 2 shown]
	v_sub_f16_e32 v124, v106, v112
	v_add_f16_e32 v92, v38, v82
	v_add_f16_e32 v47, v97, v47
	;; [unrolled: 1-line block ×4, first 2 shown]
	v_fma_f16 v38, -0.5, v123, v37
	v_add_f16_e32 v77, v131, v108
	v_fma_f16 v74, -0.5, v132, v71
	v_sub_f16_e32 v125, v108, v110
	v_sub_f16_e32 v134, v48, v42
	v_fmac_f16_e32 v37, -0.5, v128
	v_fmac_f16_e32 v71, -0.5, v136
	v_sub_f16_e32 v118, v98, v100
	v_sub_f16_e32 v119, v104, v102
	;; [unrolled: 1-line block ×3, first 2 shown]
	v_add_f16_e32 v90, v90, v95
	v_add_f16_e32 v95, v105, v107
	;; [unrolled: 1-line block ×4, first 2 shown]
	v_fmamk_f16 v49, v70, 0x3b9c, v46
	v_fmamk_f16 v50, v84, 0xbb9c, v45
	v_fmac_f16_e32 v45, 0x3b9c, v84
	v_add_f16_e32 v94, v39, v94
	v_fmamk_f16 v83, v91, 0xbb9c, v78
	v_fmamk_f16 v48, v101, 0x3b9c, v43
	;; [unrolled: 1-line block ×3, first 2 shown]
	v_sub_f16_e32 v113, v41, v44
	v_sub_f16_e32 v98, v100, v98
	;; [unrolled: 1-line block ×3, first 2 shown]
	v_fmamk_f16 v82, v93, 0x3b9c, v73
	v_fmac_f16_e32 v73, 0xbb9c, v93
	v_fmamk_f16 v39, v103, 0xbb9c, v40
	v_fmac_f16_e32 v40, 0x3b9c, v103
	;; [unrolled: 2-line block ×3, first 2 shown]
	v_sub_f16_e32 v127, v81, v42
	v_sub_f16_e32 v137, v110, v112
	v_fmac_f16_e32 v46, 0xbb9c, v70
	v_add_f16_e32 v47, v47, v41
	v_add_f16_e32 v102, v69, v102
	;; [unrolled: 1-line block ×3, first 2 shown]
	v_fmamk_f16 v41, v124, 0x3b9c, v38
	v_add_f16_e32 v110, v77, v110
	v_fmamk_f16 v77, v133, 0xbb9c, v74
	v_sub_f16_e32 v130, v42, v81
	v_fmamk_f16 v42, v125, 0xbb9c, v37
	v_fmamk_f16 v76, v134, 0x3b9c, v71
	v_fmac_f16_e32 v78, 0x3b9c, v91
	v_fmac_f16_e32 v37, 0x3b9c, v125
	;; [unrolled: 1-line block ×3, first 2 shown]
	v_add_f16_e32 v99, v118, v119
	v_fmac_f16_e32 v43, 0xbb9c, v101
	v_fmac_f16_e32 v75, 0x3b9c, v116
	;; [unrolled: 1-line block ×4, first 2 shown]
	v_add_f16_e32 v69, v108, v89
	v_fmac_f16_e32 v49, 0x38b4, v84
	v_fmac_f16_e32 v50, 0x38b4, v70
	v_fmac_f16_e32 v45, 0xb8b4, v70
	v_add_f16_e32 v70, v94, v96
	v_fmac_f16_e32 v83, 0xb8b4, v93
	v_fmac_f16_e32 v48, 0x38b4, v103
	;; [unrolled: 1-line block ×3, first 2 shown]
	v_add_f16_e32 v97, v111, v113
	v_add_f16_e32 v98, v98, v121
	v_fmac_f16_e32 v73, 0x38b4, v91
	v_fmac_f16_e32 v40, 0xb8b4, v101
	;; [unrolled: 1-line block ×3, first 2 shown]
	v_add_f16_e32 v100, v126, v127
	v_fmac_f16_e32 v46, 0xb8b4, v84
	v_fmac_f16_e32 v82, 0xb8b4, v91
	v_add_f16_e32 v47, v47, v44
	v_add_f16_e32 v84, v102, v104
	;; [unrolled: 1-line block ×3, first 2 shown]
	v_fmac_f16_e32 v41, 0x38b4, v125
	v_add_f16_e32 v81, v110, v112
	v_fmac_f16_e32 v77, 0xb8b4, v134
	v_add_f16_e32 v105, v129, v130
	v_add_f16_e32 v106, v106, v137
	v_fmac_f16_e32 v39, 0x38b4, v101
	v_fmac_f16_e32 v79, 0xb8b4, v116
	;; [unrolled: 1-line block ×15, first 2 shown]
	v_pack_b32_f16 v89, v69, v70
	v_fmac_f16_e32 v45, 0x34f2, v140
	v_fmac_f16_e32 v73, 0x34f2, v90
	;; [unrolled: 1-line block ×8, first 2 shown]
	v_pack_b32_f16 v90, v47, v84
	v_pack_b32_f16 v91, v44, v81
	v_fmac_f16_e32 v39, 0x34f2, v97
	v_fmac_f16_e32 v79, 0x34f2, v98
	;; [unrolled: 1-line block ×12, first 2 shown]
	ds_write_b32 v66, v89
	v_pack_b32_f16 v89, v49, v83
	v_pack_b32_f16 v95, v48, v80
	;; [unrolled: 1-line block ×5, first 2 shown]
	ds_write2_b32 v53, v90, v91 offset0:85 offset1:170
	v_pack_b32_f16 v90, v41, v77
	v_pack_b32_f16 v96, v39, v79
	;; [unrolled: 1-line block ×7, first 2 shown]
	ds_write2_b32 v67, v89, v95 offset0:127 offset1:212
	ds_write2_b32 v88, v93, v97 offset0:125 offset1:210
	;; [unrolled: 1-line block ×6, first 2 shown]
	s_waitcnt lgkmcnt(0)
	s_barrier
	buffer_gl0_inv
	s_and_saveexec_b32 s1, vcc_lo
	s_cbranch_execz .LBB0_9
; %bb.8:
	v_add_co_u32 v92, s0, s12, v51
	v_add_co_ci_u32_e64 v93, null, s13, 0, s0
	v_add_nc_u32_e32 v120, 0xe00, v53
	v_add_co_u32 v88, s0, 0x1000, v92
	v_add_co_ci_u32_e64 v89, s0, 0, v93, s0
	global_load_dword v94, v[88:89], off offset:1004
	v_add_co_u32 v88, s0, 0x13ec, v92
	v_add_co_ci_u32_e64 v89, s0, 0, v93, s0
	v_add_co_u32 v90, s0, 0x1800, v92
	v_add_co_ci_u32_e64 v91, s0, 0, v93, s0
	s_clause 0x7
	global_load_dword v104, v[88:89], off offset:300
	global_load_dword v105, v[88:89], off offset:600
	;; [unrolled: 1-line block ×8, first 2 shown]
	v_add_co_u32 v88, s0, 0x2000, v92
	v_add_co_ci_u32_e64 v89, s0, 0, v93, s0
	s_clause 0x7
	global_load_dword v112, v[90:91], off offset:1656
	global_load_dword v113, v[90:91], off offset:1956
	global_load_dword v114, v[88:89], off offset:208
	global_load_dword v115, v[88:89], off offset:508
	global_load_dword v116, v[88:89], off offset:808
	global_load_dword v117, v[88:89], off offset:1108
	global_load_dword v118, v[88:89], off offset:1408
	global_load_dword v119, v[88:89], off offset:1708
	ds_read_b32 v88, v66
	s_waitcnt lgkmcnt(0)
	v_lshrrev_b32_e32 v89, 16, v88
	s_waitcnt vmcnt(16)
	v_mul_f16_sdwa v90, v89, v94 dst_sel:DWORD dst_unused:UNUSED_PAD src0_sel:DWORD src1_sel:WORD_1
	v_mul_f16_sdwa v91, v88, v94 dst_sel:DWORD dst_unused:UNUSED_PAD src0_sel:DWORD src1_sel:WORD_1
	v_fma_f16 v88, v88, v94, -v90
	v_fmac_f16_e32 v91, v89, v94
	v_pack_b32_f16 v88, v88, v91
	ds_write_b32 v66, v88
	ds_read2_b32 v[88:89], v53 offset0:75 offset1:150
	ds_read2_b32 v[90:91], v67 offset0:97 offset1:172
	;; [unrolled: 1-line block ×8, first 2 shown]
	s_waitcnt lgkmcnt(7)
	v_lshrrev_b32_e32 v121, 16, v88
	s_waitcnt vmcnt(15)
	v_mul_f16_sdwa v122, v88, v104 dst_sel:DWORD dst_unused:UNUSED_PAD src0_sel:DWORD src1_sel:WORD_1
	v_lshrrev_b32_e32 v123, 16, v89
	s_waitcnt vmcnt(14)
	v_mul_f16_sdwa v124, v89, v105 dst_sel:DWORD dst_unused:UNUSED_PAD src0_sel:DWORD src1_sel:WORD_1
	s_waitcnt lgkmcnt(6)
	v_lshrrev_b32_e32 v125, 16, v90
	s_waitcnt vmcnt(13)
	v_mul_f16_sdwa v126, v90, v106 dst_sel:DWORD dst_unused:UNUSED_PAD src0_sel:DWORD src1_sel:WORD_1
	v_lshrrev_b32_e32 v127, 16, v91
	s_waitcnt vmcnt(12)
	v_mul_f16_sdwa v128, v91, v107 dst_sel:DWORD dst_unused:UNUSED_PAD src0_sel:DWORD src1_sel:WORD_1
	;; [unrolled: 7-line block ×3, first 2 shown]
	s_waitcnt lgkmcnt(4)
	v_lshrrev_b32_e32 v133, 16, v94
	v_mul_f16_sdwa v134, v94, v109 dst_sel:DWORD dst_unused:UNUSED_PAD src0_sel:DWORD src1_sel:WORD_1
	v_lshrrev_b32_e32 v135, 16, v95
	s_waitcnt vmcnt(8)
	v_mul_f16_sdwa v136, v95, v111 dst_sel:DWORD dst_unused:UNUSED_PAD src0_sel:DWORD src1_sel:WORD_1
	s_waitcnt lgkmcnt(3)
	v_lshrrev_b32_e32 v137, 16, v96
	s_waitcnt vmcnt(7)
	v_mul_f16_sdwa v138, v96, v112 dst_sel:DWORD dst_unused:UNUSED_PAD src0_sel:DWORD src1_sel:WORD_1
	v_lshrrev_b32_e32 v139, 16, v97
	s_waitcnt vmcnt(6)
	v_mul_f16_sdwa v140, v97, v113 dst_sel:DWORD dst_unused:UNUSED_PAD src0_sel:DWORD src1_sel:WORD_1
	s_waitcnt lgkmcnt(2)
	v_lshrrev_b32_e32 v141, 16, v98
	s_waitcnt vmcnt(5)
	;; [unrolled: 7-line block ×4, first 2 shown]
	v_mul_f16_sdwa v150, v102, v118 dst_sel:DWORD dst_unused:UNUSED_PAD src0_sel:DWORD src1_sel:WORD_1
	v_lshrrev_b32_e32 v151, 16, v103
	v_mul_f16_sdwa v153, v121, v104 dst_sel:DWORD dst_unused:UNUSED_PAD src0_sel:DWORD src1_sel:WORD_1
	v_fmac_f16_e32 v122, v121, v104
	v_mul_f16_sdwa v121, v123, v105 dst_sel:DWORD dst_unused:UNUSED_PAD src0_sel:DWORD src1_sel:WORD_1
	v_fmac_f16_e32 v124, v123, v105
	;; [unrolled: 2-line block ×9, first 2 shown]
	v_mul_f16_sdwa v137, v139, v113 dst_sel:DWORD dst_unused:UNUSED_PAD src0_sel:DWORD src1_sel:WORD_1
	s_waitcnt vmcnt(0)
	v_mul_f16_sdwa v152, v103, v119 dst_sel:DWORD dst_unused:UNUSED_PAD src0_sel:DWORD src1_sel:WORD_1
	v_fmac_f16_e32 v140, v139, v113
	v_mul_f16_sdwa v139, v141, v114 dst_sel:DWORD dst_unused:UNUSED_PAD src0_sel:DWORD src1_sel:WORD_1
	v_fmac_f16_e32 v142, v141, v114
	;; [unrolled: 2-line block ×6, first 2 shown]
	v_mul_f16_sdwa v149, v151, v119 dst_sel:DWORD dst_unused:UNUSED_PAD src0_sel:DWORD src1_sel:WORD_1
	v_fma_f16 v88, v88, v104, -v153
	v_fma_f16 v89, v89, v105, -v121
	;; [unrolled: 1-line block ×10, first 2 shown]
	v_fmac_f16_e32 v152, v151, v119
	v_fma_f16 v98, v98, v114, -v139
	v_fma_f16 v99, v99, v115, -v141
	;; [unrolled: 1-line block ×6, first 2 shown]
	v_pack_b32_f16 v88, v88, v122
	v_pack_b32_f16 v89, v89, v124
	;; [unrolled: 1-line block ×16, first 2 shown]
	ds_write2_b32 v53, v88, v89 offset0:75 offset1:150
	ds_write2_b32 v67, v90, v91 offset0:97 offset1:172
	;; [unrolled: 1-line block ×8, first 2 shown]
.LBB0_9:
	s_or_b32 exec_lo, exec_lo, s1
	s_waitcnt lgkmcnt(0)
	s_barrier
	buffer_gl0_inv
	s_and_saveexec_b32 s0, vcc_lo
	s_cbranch_execz .LBB0_11
; %bb.10:
	v_add_nc_u32_e32 v25, 0x200, v66
	v_add_nc_u32_e32 v26, 0x400, v66
	ds_read_b32 v69, v66
	ds_read2_b32 v[49:50], v66 offset0:75 offset1:150
	v_add_nc_u32_e32 v37, 0x800, v66
	ds_read2_b32 v[45:46], v25 offset0:97 offset1:172
	ds_read2_b32 v[47:48], v26 offset0:119 offset1:194
	v_add_nc_u32_e32 v25, 0xc00, v66
	v_add_nc_u32_e32 v26, 0xe00, v66
	;; [unrolled: 1-line block ×3, first 2 shown]
	ds_read2_b32 v[39:40], v37 offset0:13 offset1:88
	ds_read2_b32 v[43:44], v37 offset0:163 offset1:238
	;; [unrolled: 1-line block ×5, first 2 shown]
	s_waitcnt lgkmcnt(8)
	v_lshrrev_b32_e32 v70, 16, v69
	s_waitcnt lgkmcnt(7)
	v_lshrrev_b32_e32 v83, 16, v49
	v_lshrrev_b32_e32 v82, 16, v50
	s_waitcnt lgkmcnt(6)
	v_lshrrev_b32_e32 v73, 16, v45
	;; [unrolled: 3-line block ×8, first 2 shown]
	v_lshrrev_b32_e32 v55, 16, v26
.LBB0_11:
	s_or_b32 exec_lo, exec_lo, s0
	v_add_nc_u32_e32 v68, 0x154, v53
	v_add_nc_u32_e32 v67, 0x2a8, v53
	s_barrier
	buffer_gl0_inv
	s_and_saveexec_b32 s0, vcc_lo
	s_cbranch_execz .LBB0_13
; %bb.12:
	v_add_f16_e32 v176, v55, v83
	v_sub_f16_e32 v90, v49, v26
	v_add_f16_e32 v174, v56, v82
	v_sub_f16_e32 v89, v50, v25
	v_add_f16_e32 v170, v74, v73
	v_mul_f16_e32 v115, 0xbbdd, v176
	v_sub_f16_e32 v86, v45, v38
	v_mul_f16_e32 v116, 0x3b76, v174
	v_add_f16_e32 v167, v71, v78
	v_mul_f16_e32 v110, 0xbacd, v170
	v_fmamk_f16 v88, v90, 0x31e1, v115
	v_sub_f16_e32 v85, v46, v37
	v_fmamk_f16 v91, v89, 0xb5c8, v116
	v_add_f16_e32 v157, v76, v84
	v_mul_f16_e32 v112, 0x39e9, v167
	v_add_f16_e32 v92, v70, v88
	v_fmamk_f16 v93, v86, 0x3836, v110
	v_sub_f16_e32 v187, v83, v55
	v_sub_f16_e32 v87, v47, v42
	v_mul_f16_e32 v111, 0xb8d2, v157
	v_add_f16_e32 v92, v91, v92
	v_add_f16_e32 v91, v26, v49
	v_fmamk_f16 v94, v85, 0xb964, v112
	v_sub_f16_e32 v190, v82, v56
	v_mul_f16_e32 v122, 0xb1e1, v187
	v_add_f16_e32 v92, v93, v92
	v_add_f16_e32 v156, v77, v80
	v_fmamk_f16 v95, v87, 0x3a62, v111
	v_add_f16_e32 v93, v25, v50
	v_mul_f16_e32 v120, 0x35c8, v190
	v_add_f16_e32 v92, v94, v92
	v_fmamk_f16 v94, v91, 0xbbdd, v122
	v_sub_f16_e32 v198, v73, v74
	v_sub_f16_e32 v88, v48, v41
	v_mul_f16_e32 v113, 0x3722, v156
	v_add_f16_e32 v97, v95, v92
	v_add_f16_e32 v95, v69, v94
	v_fmamk_f16 v98, v93, 0x3b76, v120
	v_add_f16_e32 v94, v38, v45
	v_mul_f16_e32 v124, 0xb836, v198
	v_sub_f16_e32 v199, v78, v71
	v_fmamk_f16 v96, v88, 0xbb29, v113
	v_add_f16_e32 v98, v98, v95
	v_add_f16_e32 v95, v37, v46
	v_fmamk_f16 v99, v94, 0xbacd, v124
	v_mul_f16_e32 v119, 0x3964, v199
	v_sub_f16_e32 v201, v84, v76
	v_add_f16_e32 v97, v96, v97
	v_add_f16_e32 v96, v42, v47
	v_add_f16_e32 v98, v99, v98
	v_fmamk_f16 v99, v95, 0x39e9, v119
	v_mul_f16_e32 v121, 0xba62, v201
	v_add_f16_e32 v181, v81, v79
	v_mul_f16_e32 v133, 0xbacd, v176
	v_sub_f16_e32 v92, v39, v44
	v_add_f16_e32 v98, v99, v98
	v_fmamk_f16 v99, v96, 0xb8d2, v121
	v_mul_f16_e32 v114, 0xb461, v181
	v_mul_f16_e32 v134, 0x3722, v174
	v_add_f16_e32 v200, v75, v72
	v_sub_f16_e32 v211, v80, v77
	v_add_f16_e32 v98, v99, v98
	v_fmamk_f16 v99, v90, 0x3836, v133
	v_fmamk_f16 v100, v92, 0x3bb2, v114
	;; [unrolled: 1-line block ×3, first 2 shown]
	v_mul_f16_e32 v135, 0x2de8, v170
	v_mul_f16_e32 v118, 0x2de8, v200
	v_add_f16_e32 v102, v70, v99
	v_add_f16_e32 v101, v100, v97
	v_sub_f16_e32 v97, v40, v43
	v_add_f16_e32 v100, v41, v48
	v_mul_f16_e32 v132, 0x3b29, v211
	v_sub_f16_e32 v209, v79, v81
	v_add_f16_e32 v102, v103, v102
	v_fmamk_f16 v103, v86, 0x3bf7, v135
	v_mul_f16_e32 v128, 0xb8d2, v167
	v_fmamk_f16 v104, v100, 0x3722, v132
	v_add_f16_e32 v99, v44, v39
	v_mul_f16_e32 v126, 0xbbb2, v209
	v_fmamk_f16 v105, v97, 0xbbf7, v118
	v_add_f16_e32 v102, v103, v102
	v_fmamk_f16 v103, v85, 0xba62, v128
	v_mul_f16_e32 v129, 0x3b76, v157
	v_sub_f16_e32 v212, v72, v75
	v_add_f16_e32 v104, v104, v98
	v_fmamk_f16 v106, v99, 0xb461, v126
	v_add_f16_e32 v98, v105, v101
	v_add_f16_e32 v102, v103, v102
	v_fmamk_f16 v103, v87, 0x35c8, v129
	v_mul_f16_e32 v123, 0xbbdd, v156
	v_add_f16_e32 v101, v43, v40
	v_mul_f16_e32 v130, 0x3bf7, v212
	v_mul_f16_e32 v146, 0xb836, v187
	v_add_f16_e32 v104, v106, v104
	v_add_f16_e32 v102, v103, v102
	v_fmamk_f16 v103, v88, 0x31e1, v123
	v_mul_f16_e32 v125, 0x39e9, v181
	v_fmamk_f16 v105, v101, 0x2de8, v130
	v_fmamk_f16 v106, v91, 0xbacd, v146
	v_mul_f16_e32 v147, 0x3b29, v190
	v_add_f16_e32 v103, v103, v102
	v_fmamk_f16 v107, v92, 0xb964, v125
	v_add_f16_e32 v102, v105, v104
	v_add_f16_e32 v104, v69, v106
	v_fmamk_f16 v105, v93, 0x3722, v147
	v_mul_f16_e32 v149, 0xbbf7, v198
	v_mul_f16_e32 v150, 0xb8d2, v176
	v_add_f16_e32 v103, v107, v103
	v_mul_f16_e32 v154, 0x3a62, v199
	v_add_f16_e32 v104, v105, v104
	v_fmamk_f16 v105, v94, 0x2de8, v149
	v_fmamk_f16 v107, v90, 0x3a62, v150
	v_mul_f16_e32 v151, 0xb461, v174
	v_mul_f16_e32 v155, 0xb5c8, v201
	;; [unrolled: 1-line block ×3, first 2 shown]
	v_add_f16_e32 v104, v105, v104
	v_fmamk_f16 v105, v95, 0xb8d2, v154
	v_add_f16_e32 v107, v70, v107
	v_fmamk_f16 v108, v89, 0xbbb2, v151
	v_mul_f16_e32 v117, 0xb461, v200
	v_mul_f16_e32 v141, 0xb1e1, v211
	v_add_f16_e32 v104, v105, v104
	v_fmamk_f16 v105, v96, 0x3b76, v155
	v_add_f16_e32 v107, v108, v107
	v_fmamk_f16 v108, v86, 0x35c8, v137
	v_mul_f16_e32 v139, 0xbacd, v167
	v_fmamk_f16 v106, v97, 0x3bb2, v117
	v_add_f16_e32 v104, v105, v104
	v_fmamk_f16 v105, v100, 0xbbdd, v141
	v_mul_f16_e32 v142, 0x3964, v209
	v_add_f16_e32 v107, v108, v107
	v_fmamk_f16 v108, v85, 0x3836, v139
	v_mul_f16_e32 v140, 0x2de8, v157
	v_add_f16_e32 v104, v105, v104
	v_fmamk_f16 v105, v99, 0x39e9, v142
	v_add_f16_e32 v103, v106, v103
	v_add_f16_e32 v106, v108, v107
	v_fmamk_f16 v107, v87, 0xbbf7, v140
	v_mul_f16_e32 v131, 0x39e9, v156
	v_mul_f16_e32 v143, 0xbbb2, v212
	;; [unrolled: 1-line block ×3, first 2 shown]
	v_add_f16_e32 v104, v105, v104
	v_add_f16_e32 v105, v107, v106
	v_fmamk_f16 v106, v88, 0x3964, v131
	v_mul_f16_e32 v136, 0xbbdd, v181
	v_fmamk_f16 v107, v101, 0xb461, v143
	v_fmamk_f16 v108, v91, 0xb8d2, v163
	v_mul_f16_e32 v164, 0x3bb2, v190
	v_add_f16_e32 v105, v106, v105
	v_fmamk_f16 v106, v92, 0x31e1, v136
	v_add_f16_e32 v104, v107, v104
	v_add_f16_e32 v107, v69, v108
	v_fmamk_f16 v108, v93, 0xb461, v164
	v_mul_f16_e32 v165, 0xb5c8, v198
	v_mul_f16_e32 v161, 0xb461, v176
	v_add_f16_e32 v105, v106, v105
	v_mul_f16_e32 v179, 0xb836, v199
	v_add_f16_e32 v106, v108, v107
	v_fmamk_f16 v107, v94, 0x3b76, v165
	v_fmamk_f16 v109, v90, 0x3bb2, v161
	v_mul_f16_e32 v162, 0xbacd, v174
	v_mul_f16_e32 v172, 0x3bf7, v201
	;; [unrolled: 1-line block ×3, first 2 shown]
	v_add_f16_e32 v106, v107, v106
	v_fmamk_f16 v107, v95, 0xbacd, v179
	v_add_f16_e32 v109, v70, v109
	v_fmamk_f16 v138, v89, 0xb836, v162
	v_mul_f16_e32 v127, 0x3722, v200
	v_mul_f16_e32 v173, 0xb964, v211
	v_add_f16_e32 v106, v107, v106
	v_fmamk_f16 v107, v96, 0x2de8, v172
	v_add_f16_e32 v109, v138, v109
	v_fmamk_f16 v138, v86, 0xb964, v152
	v_mul_f16_e32 v153, 0x3722, v167
	v_fmamk_f16 v108, v97, 0xbb29, v127
	v_add_f16_e32 v106, v107, v106
	v_fmamk_f16 v107, v100, 0x39e9, v173
	v_mul_f16_e32 v158, 0xb1e1, v209
	v_add_f16_e32 v109, v138, v109
	v_fmamk_f16 v138, v85, 0x3b29, v153
	v_mul_f16_e32 v144, 0xbbdd, v157
	v_add_f16_e32 v106, v107, v106
	v_fmamk_f16 v107, v99, 0xbbdd, v158
	v_add_f16_e32 v105, v108, v105
	v_add_f16_e32 v108, v138, v109
	v_fmamk_f16 v109, v87, 0x31e1, v144
	v_mul_f16_e32 v145, 0x2de8, v156
	v_mul_f16_e32 v159, 0x3b29, v212
	;; [unrolled: 1-line block ×3, first 2 shown]
	v_add_f16_e32 v106, v107, v106
	v_add_f16_e32 v107, v109, v108
	v_fmamk_f16 v108, v88, 0xbbf7, v145
	v_mul_f16_e32 v148, 0x3b76, v181
	v_fmamk_f16 v109, v101, 0x3722, v159
	v_fmamk_f16 v138, v91, 0xb461, v178
	v_mul_f16_e32 v180, 0x3836, v190
	v_add_f16_e32 v107, v108, v107
	v_fmamk_f16 v108, v92, 0x35c8, v148
	v_add_f16_e32 v106, v109, v106
	v_add_f16_e32 v109, v69, v138
	v_fmamk_f16 v160, v93, 0xbacd, v180
	v_mul_f16_e32 v182, 0x3964, v198
	v_add_f16_e32 v107, v108, v107
	v_mul_f16_e32 v192, 0xbb29, v199
	v_mul_f16_e32 v193, 0xb1e1, v201
	v_add_f16_e32 v108, v160, v109
	v_fmamk_f16 v109, v94, 0x39e9, v182
	v_mul_f16_e32 v194, 0x3bf7, v211
	v_mul_f16_e32 v183, 0x2de8, v176
	;; [unrolled: 1-line block ×4, first 2 shown]
	v_add_f16_e32 v108, v109, v108
	v_fmamk_f16 v109, v95, 0x3722, v192
	v_fmamk_f16 v166, v90, 0x3bf7, v183
	v_mul_f16_e32 v184, 0xbbdd, v174
	v_mul_f16_e32 v188, 0xba62, v212
	v_fmamk_f16 v177, v91, 0x2de8, v202
	v_add_f16_e32 v108, v109, v108
	v_fmamk_f16 v109, v96, 0xbbdd, v193
	v_mul_f16_e32 v203, 0xb1e1, v190
	v_add_f16_e32 v166, v70, v166
	v_fmamk_f16 v168, v89, 0x31e1, v184
	v_mul_f16_e32 v185, 0xb461, v170
	v_add_f16_e32 v108, v109, v108
	v_fmamk_f16 v109, v100, 0x2de8, v194
	v_fmamk_f16 v186, v101, 0xb8d2, v188
	v_add_f16_e32 v177, v69, v177
	v_fmamk_f16 v189, v93, 0xbbdd, v203
	v_mul_f16_e32 v204, 0x3bb2, v198
	v_add_f16_e32 v108, v109, v108
	v_fmamk_f16 v109, v99, 0x3b76, v175
	v_mul_f16_e32 v205, 0x3722, v176
	v_mul_f16_e32 v138, 0xb8d2, v200
	v_add_f16_e32 v166, v168, v166
	v_fmamk_f16 v168, v86, 0xbbb2, v185
	v_add_f16_e32 v108, v109, v108
	v_mul_f16_e32 v169, 0x3b76, v167
	v_add_f16_e32 v177, v189, v177
	v_mul_f16_e32 v207, 0x35c8, v199
	v_fmamk_f16 v189, v90, 0x3b29, v205
	v_add_f16_e32 v108, v186, v108
	v_fmamk_f16 v186, v94, 0xb461, v204
	v_mul_f16_e32 v206, 0xb8d2, v174
	v_fmamk_f16 v160, v97, 0x3a62, v138
	v_add_f16_e32 v166, v168, v166
	v_fmamk_f16 v168, v85, 0xb5c8, v169
	v_mul_f16_e32 v171, 0x3722, v157
	v_add_f16_e32 v177, v186, v177
	v_fmamk_f16 v191, v95, 0x3b76, v207
	v_mul_f16_e32 v208, 0xbb29, v201
	;; [unrolled: 3-line block ×3, first 2 shown]
	v_add_f16_e32 v107, v160, v107
	v_add_f16_e32 v166, v168, v166
	v_fmamk_f16 v168, v87, 0x3b29, v171
	v_mul_f16_e32 v160, 0xbacd, v156
	v_add_f16_e32 v177, v191, v177
	v_fmamk_f16 v191, v96, 0x3722, v208
	v_mul_f16_e32 v195, 0xb836, v211
	;; [unrolled: 3-line block ×6, first 2 shown]
	v_add_f16_e32 v109, v166, v109
	v_fmamk_f16 v166, v92, 0xba62, v168
	v_add_f16_e32 v215, v213, v177
	v_fmamk_f16 v216, v99, 0xb8d2, v197
	;; [unrolled: 2-line block ×3, first 2 shown]
	v_mul_f16_e32 v177, 0x3b76, v156
	v_add_f16_e32 v109, v166, v109
	v_mul_f16_e32 v166, 0x39e9, v200
	v_add_f16_e32 v223, v216, v215
	v_add_f16_e32 v215, v210, v196
	v_fmamk_f16 v216, v88, 0x35c8, v177
	v_mul_f16_e32 v196, 0x2de8, v181
	v_fmamk_f16 v214, v97, 0xb964, v166
	v_mul_f16_e32 v213, 0xbb29, v187
	v_add_f16_e32 v226, v49, v69
	v_add_f16_e32 v216, v216, v215
	v_fmamk_f16 v220, v92, 0x3bf7, v196
	v_mul_f16_e32 v215, 0x39e9, v176
	v_add_f16_e32 v109, v214, v109
	v_fmamk_f16 v217, v91, 0x3722, v213
	v_mul_f16_e32 v214, 0xba62, v190
	;; [unrolled: 3-line block ×5, first 2 shown]
	v_add_f16_e32 v50, v50, v226
	v_add_f16_e32 v218, v219, v218
	v_fmamk_f16 v221, v94, 0xbbdd, v217
	v_mul_f16_e32 v219, 0x3bb2, v199
	v_add_f16_e32 v227, v227, v220
	v_fmamk_f16 v228, v86, 0x3a62, v49
	v_add_f16_e32 v45, v45, v50
	v_mul_f16_e32 v50, 0xbbdd, v167
	v_add_f16_e32 v221, v221, v218
	v_fmamk_f16 v222, v95, 0xb461, v219
	v_mul_f16_e32 v218, 0x3964, v201
	v_add_f16_e32 v46, v46, v45
	v_add_f16_e32 v227, v228, v227
	v_fmamk_f16 v228, v85, 0x31e1, v50
	v_mul_f16_e32 v210, 0x3964, v212
	v_add_f16_e32 v222, v222, v221
	v_fmamk_f16 v226, v96, 0x39e9, v218
	v_mul_f16_e32 v221, 0xb5c8, v211
	v_mul_f16_e32 v45, 0xbacd, v157
	v_add_f16_e32 v47, v47, v46
	v_add_f16_e32 v227, v228, v227
	v_mul_f16_e32 v228, 0xb964, v187
	v_fmamk_f16 v224, v101, 0x39e9, v210
	v_add_f16_e32 v222, v226, v222
	v_fmamk_f16 v226, v100, 0x3b76, v221
	v_mul_f16_e32 v220, 0xbbf7, v209
	v_fmamk_f16 v229, v87, 0xb836, v45
	v_mul_f16_e32 v46, 0xb461, v156
	v_add_f16_e32 v231, v48, v47
	v_fmamk_f16 v232, v91, 0x39e9, v228
	v_mul_f16_e32 v230, 0xbbf7, v190
	v_add_f16_e32 v222, v226, v222
	;; [unrolled: 3-line block ×3, first 2 shown]
	v_fmamk_f16 v229, v88, 0xbbb2, v46
	v_add_f16_e32 v233, v39, v231
	v_add_f16_e32 v39, v224, v223
	;; [unrolled: 1-line block ×3, first 2 shown]
	v_fmamk_f16 v232, v93, 0x2de8, v230
	v_mul_f16_e32 v231, 0xba62, v198
	v_mul_f16_e32 v47, 0xb836, v212
	v_add_f16_e32 v226, v226, v222
	v_mul_f16_e32 v222, 0x3722, v181
	v_fmamk_f16 v223, v97, 0x3836, v48
	v_add_f16_e32 v234, v229, v227
	v_add_f16_e32 v227, v232, v224
	v_fmamk_f16 v232, v94, 0xb8d2, v231
	v_mul_f16_e32 v229, 0xb1e1, v199
	v_fmamk_f16 v235, v92, 0xbb29, v222
	v_add_f16_e32 v233, v40, v233
	v_mul_f16_e32 v224, 0x3b76, v200
	v_fmamk_f16 v236, v101, 0xbacd, v47
	v_add_f16_e32 v40, v223, v225
	v_add_f16_e32 v225, v232, v227
	v_fmamk_f16 v232, v95, 0xbbdd, v229
	v_mul_f16_e32 v227, 0x3836, v201
	v_add_f16_e32 v234, v235, v234
	v_fmamk_f16 v235, v97, 0xb5c8, v224
	v_add_f16_e32 v223, v236, v226
	v_add_f16_e32 v236, v232, v225
	v_fmamk_f16 v237, v96, 0xbacd, v227
	v_mul_f16_e32 v226, 0x3bb2, v211
	v_add_f16_e32 v225, v235, v234
	v_add_f16_e32 v43, v43, v233
	v_mul_f16_e32 v232, 0x3b76, v176
	v_add_f16_e32 v233, v237, v236
	v_fmamk_f16 v234, v100, 0xb461, v226
	v_mul_f16_e32 v176, 0x3b29, v209
	v_add_f16_e32 v235, v44, v43
	v_fmamk_f16 v43, v90, 0x35c8, v232
	;; [unrolled: 3-line block ×4, first 2 shown]
	v_add_f16_e32 v237, v83, v70
	v_add_f16_e32 v233, v234, v233
	v_fmamk_f16 v234, v101, 0x3b76, v44
	v_mul_f16_e32 v170, 0x3722, v170
	v_add_f16_e32 v236, v236, v43
	v_mul_f16_e32 v83, 0x2de8, v167
	v_mul_f16_e32 v167, 0xb5c8, v187
	v_add_f16_e32 v43, v234, v233
	v_add_f16_e32 v233, v82, v237
	v_fmamk_f16 v238, v86, 0x3b29, v170
	v_fmamk_f16 v234, v85, 0x3bf7, v83
	v_mul_f16_e32 v82, 0xb461, v157
	v_mul_f16_e32 v157, 0xb964, v190
	v_add_f16_e32 v73, v73, v233
	v_add_f16_e32 v187, v238, v236
	v_fmamk_f16 v233, v91, 0x3b76, v167
	v_fmamk_f16 v190, v87, 0x3bb2, v82
	v_mul_f16_e32 v198, 0xbb29, v198
	v_add_f16_e32 v78, v78, v73
	v_add_f16_e32 v187, v234, v187
	;; [unrolled: 1-line block ×3, first 2 shown]
	v_fmamk_f16 v234, v93, 0x39e9, v157
	v_mul_f16_e32 v73, 0xb8d2, v156
	v_add_f16_e32 v78, v84, v78
	v_add_f16_e32 v187, v190, v187
	v_fmamk_f16 v190, v94, 0x3722, v198
	v_add_f16_e32 v156, v234, v233
	v_mul_f16_e32 v199, 0xbbf7, v199
	v_fmamk_f16 v233, v88, 0x3a62, v73
	v_mul_f16_e32 v84, 0xbacd, v181
	v_add_f16_e32 v78, v80, v78
	v_add_f16_e32 v80, v190, v156
	v_fmamk_f16 v156, v95, 0x2de8, v199
	v_add_f16_e32 v181, v233, v187
	v_mul_f16_e32 v187, 0xbbb2, v201
	v_fmamk_f16 v190, v92, 0x3836, v84
	v_add_f16_e32 v79, v79, v78
	v_mul_f16_e32 v78, 0xbbdd, v200
	v_add_f16_e32 v80, v156, v80
	v_fmamk_f16 v156, v96, 0xb461, v187
	v_mul_f16_e32 v200, 0xba62, v211
	v_add_f16_e32 v181, v190, v181
	v_add_f16_e32 v72, v72, v79
	v_fmamk_f16 v79, v97, 0x31e1, v78
	v_add_f16_e32 v80, v156, v80
	v_fmamk_f16 v156, v100, 0xb8d2, v200
	v_add_f16_e32 v41, v41, v235
	v_add_f16_e32 v72, v75, v72
	v_add_f16_e32 v75, v79, v181
	v_mul_f16_e32 v79, 0xb836, v209
	v_add_f16_e32 v80, v156, v80
	v_add_f16_e32 v41, v42, v41
	;; [unrolled: 1-line block ×3, first 2 shown]
	v_fmac_f16_e32 v115, 0xb1e1, v90
	v_fmamk_f16 v72, v99, 0xbacd, v79
	v_mul_f16_e32 v81, 0xb1e1, v212
	v_add_f16_e32 v37, v37, v41
	v_add_f16_e32 v41, v77, v42
	;; [unrolled: 1-line block ×3, first 2 shown]
	v_fmac_f16_e32 v116, 0x35c8, v89
	v_add_f16_e32 v72, v72, v80
	v_fmamk_f16 v77, v101, 0xbbdd, v81
	v_add_f16_e32 v37, v38, v37
	v_add_f16_e32 v38, v76, v41
	v_add_f16_e32 v41, v116, v42
	v_fmac_f16_e32 v110, 0xb836, v86
	v_add_f16_e32 v42, v77, v72
	v_fma_f16 v72, v91, 0xbbdd, -v122
	v_add_f16_e32 v25, v25, v37
	v_add_f16_e32 v37, v71, v38
	v_add_f16_e32 v38, v110, v41
	v_fmac_f16_e32 v112, 0x3964, v85
	v_add_f16_e32 v41, v69, v72
	v_fma_f16 v71, v93, 0x3b76, -v120
	;; [unrolled: 6-line block ×3, first 2 shown]
	v_add_f16_e32 v26, v56, v26
	v_fmac_f16_e32 v134, 0x3b29, v89
	v_add_f16_e32 v56, v70, v133
	v_fmac_f16_e32 v135, 0xbbf7, v86
	v_add_f16_e32 v38, v41, v38
	v_fma_f16 v41, v95, 0x39e9, -v119
	v_add_f16_e32 v26, v55, v26
	v_add_f16_e32 v56, v134, v56
	v_fmac_f16_e32 v128, 0x3a62, v85
	v_fmac_f16_e32 v129, 0xb5c8, v87
	v_add_f16_e32 v38, v41, v38
	v_fma_f16 v41, v96, 0xb8d2, -v121
	v_add_f16_e32 v55, v135, v56
	v_fma_f16 v56, v91, 0xbacd, -v146
	v_fma_f16 v71, v93, 0x3722, -v147
	v_fmac_f16_e32 v150, 0xba62, v90
	v_add_f16_e32 v38, v41, v38
	v_fma_f16 v41, v100, 0x3722, -v132
	v_add_f16_e32 v55, v128, v55
	v_add_f16_e32 v56, v69, v56
	v_add_f16_e32 v72, v70, v150
	v_fmac_f16_e32 v151, 0x3bb2, v89
	v_add_f16_e32 v38, v41, v38
	v_fma_f16 v41, v99, 0xb461, -v126
	v_fmac_f16_e32 v137, 0xb5c8, v86
	v_fmac_f16_e32 v139, 0xb836, v85
	v_fma_f16 v74, v93, 0xb461, -v164
	v_fmac_f16_e32 v140, 0x3bf7, v87
	v_add_f16_e32 v38, v41, v38
	v_add_f16_e32 v41, v129, v55
	;; [unrolled: 1-line block ×3, first 2 shown]
	v_fma_f16 v56, v94, 0x2de8, -v149
	v_fma_f16 v71, v101, 0x2de8, -v130
	v_fmac_f16_e32 v161, 0xbbb2, v90
	v_fmac_f16_e32 v162, 0x3836, v89
	;; [unrolled: 1-line block ×3, first 2 shown]
	v_add_f16_e32 v55, v56, v55
	v_fma_f16 v56, v95, 0xb8d2, -v154
	v_add_f16_e32 v38, v71, v38
	v_add_f16_e32 v71, v151, v72
	v_fma_f16 v72, v91, 0xb8d2, -v163
	v_add_f16_e32 v76, v70, v161
	;; [unrolled: 3-line block ×3, first 2 shown]
	v_add_f16_e32 v72, v69, v72
	v_fmac_f16_e32 v153, 0xbb29, v85
	v_fma_f16 v77, v93, 0xbacd, -v180
	v_add_f16_e32 v55, v56, v55
	v_fma_f16 v56, v100, 0xbbdd, -v141
	v_add_f16_e32 v71, v139, v71
	v_add_f16_e32 v72, v74, v72
	v_fma_f16 v74, v94, 0x3b76, -v165
	v_fmac_f16_e32 v183, 0xbbf7, v90
	v_add_f16_e32 v55, v56, v55
	v_fma_f16 v56, v99, 0x39e9, -v142
	v_fmac_f16_e32 v184, 0xb1e1, v89
	v_fmac_f16_e32 v185, 0x3bb2, v86
	v_add_f16_e32 v80, v70, v183
	v_fmac_f16_e32 v169, 0x35c8, v85
	v_add_f16_e32 v55, v56, v55
	v_add_f16_e32 v56, v140, v71
	;; [unrolled: 1-line block ×3, first 2 shown]
	v_fma_f16 v72, v95, 0xbacd, -v179
	v_fma_f16 v74, v101, 0xb461, -v143
	v_add_f16_e32 v80, v184, v80
	v_fmac_f16_e32 v171, 0xbb29, v87
	v_fma_f16 v110, v93, 0xbbdd, -v203
	v_add_f16_e32 v71, v72, v71
	v_fma_f16 v72, v96, 0x2de8, -v172
	v_add_f16_e32 v55, v74, v55
	v_add_f16_e32 v74, v162, v76
	v_fma_f16 v76, v91, 0xb461, -v178
	v_fmac_f16_e32 v111, 0xba62, v87
	v_add_f16_e32 v71, v72, v71
	v_fma_f16 v72, v100, 0x39e9, -v173
	v_add_f16_e32 v74, v152, v74
	v_add_f16_e32 v76, v69, v76
	v_fmac_f16_e32 v205, 0xbb29, v90
	v_add_f16_e32 v37, v111, v37
	v_add_f16_e32 v71, v72, v71
	v_fma_f16 v72, v99, 0xbbdd, -v158
	v_fmac_f16_e32 v206, 0xba62, v89
	v_add_f16_e32 v111, v70, v205
	v_fmac_f16_e32 v186, 0x31e1, v86
	v_fmac_f16_e32 v189, 0x3bb2, v85
	v_add_f16_e32 v71, v72, v71
	v_add_f16_e32 v72, v153, v74
	;; [unrolled: 1-line block ×3, first 2 shown]
	v_fma_f16 v76, v94, 0x39e9, -v182
	v_fma_f16 v77, v101, 0x3722, -v159
	;; [unrolled: 1-line block ×3, first 2 shown]
	v_fmac_f16_e32 v113, 0x3b29, v88
	v_fmac_f16_e32 v191, 0x3964, v87
	v_add_f16_e32 v74, v76, v74
	v_fma_f16 v76, v95, 0x3722, -v192
	v_add_f16_e32 v71, v77, v71
	v_add_f16_e32 v77, v185, v80
	v_fma_f16 v80, v91, 0x2de8, -v202
	v_fmac_f16_e32 v215, 0xb964, v90
	v_add_f16_e32 v74, v76, v74
	v_fma_f16 v76, v96, 0xbbdd, -v193
	v_add_f16_e32 v77, v169, v77
	v_add_f16_e32 v80, v69, v80
	;; [unrolled: 1-line block ×5, first 2 shown]
	v_fma_f16 v76, v100, 0x2de8, -v194
	v_fmac_f16_e32 v216, 0xbbf7, v89
	v_fmac_f16_e32 v177, 0xb5c8, v88
	v_fmac_f16_e32 v49, 0xba62, v86
	v_fmac_f16_e32 v196, 0xbbf7, v92
	v_add_f16_e32 v74, v76, v74
	v_fma_f16 v76, v99, 0x3b76, -v175
	v_fmac_f16_e32 v50, 0xb1e1, v85
	v_fmac_f16_e32 v48, 0xb836, v97
	;; [unrolled: 1-line block ×4, first 2 shown]
	v_add_f16_e32 v74, v76, v74
	v_add_f16_e32 v76, v171, v77
	;; [unrolled: 1-line block ×3, first 2 shown]
	v_fma_f16 v80, v94, 0xb461, -v204
	v_fma_f16 v110, v101, 0xb8d2, -v188
	v_fmac_f16_e32 v46, 0x3bb2, v88
	v_add_f16_e32 v70, v70, v232
	v_fmac_f16_e32 v174, 0xb964, v89
	v_add_f16_e32 v77, v80, v77
	v_fma_f16 v80, v95, 0x3b76, -v207
	v_add_f16_e32 v74, v110, v74
	v_add_f16_e32 v110, v206, v111
	v_fma_f16 v111, v91, 0x3722, -v213
	v_fmac_f16_e32 v170, 0xbb29, v86
	v_add_f16_e32 v77, v80, v77
	v_fma_f16 v80, v96, 0x3722, -v208
	v_add_f16_e32 v110, v186, v110
	v_add_f16_e32 v111, v69, v111
	v_fmac_f16_e32 v83, 0xbbf7, v85
	v_fmac_f16_e32 v82, 0xbbb2, v87
	v_add_f16_e32 v77, v80, v77
	v_fma_f16 v80, v100, 0xbacd, -v195
	v_add_f16_e32 v110, v189, v110
	v_add_f16_e32 v111, v112, v111
	v_fma_f16 v112, v94, 0xbbdd, -v217
	v_fmac_f16_e32 v144, 0xb1e1, v87
	v_add_f16_e32 v77, v80, v77
	v_fma_f16 v80, v99, 0xb8d2, -v197
	v_fmac_f16_e32 v73, 0xba62, v88
	v_fmac_f16_e32 v123, 0xb1e1, v88
	;; [unrolled: 1-line block ×3, first 2 shown]
	v_add_f16_e32 v72, v144, v72
	v_add_f16_e32 v77, v80, v77
	v_add_f16_e32 v80, v191, v110
	v_add_f16_e32 v110, v112, v111
	v_fma_f16 v111, v95, 0xb461, -v219
	v_fma_f16 v112, v101, 0x39e9, -v210
	v_fmac_f16_e32 v145, 0x3bf7, v88
	v_add_f16_e32 v80, v177, v80
	v_fmac_f16_e32 v160, 0xb836, v88
	v_add_f16_e32 v110, v111, v110
	v_fma_f16 v111, v96, 0x39e9, -v218
	v_add_f16_e32 v77, v112, v77
	v_add_f16_e32 v112, v216, v113
	v_fma_f16 v113, v91, 0x39e9, -v228
	v_add_f16_e32 v80, v196, v80
	;; [unrolled: 3-line block ×5, first 2 shown]
	v_add_f16_e32 v50, v113, v112
	v_fmac_f16_e32 v84, 0xb836, v92
	v_fmac_f16_e32 v114, 0xbbb2, v92
	v_add_f16_e32 v80, v111, v110
	v_fma_f16 v110, v94, 0xb8d2, -v231
	v_add_f16_e32 v45, v45, v49
	v_add_f16_e32 v41, v123, v41
	v_fmac_f16_e32 v125, 0x3964, v92
	v_add_f16_e32 v56, v131, v56
	v_add_f16_e32 v49, v110, v50
	v_fma_f16 v50, v95, 0xbbdd, -v229
	v_add_f16_e32 v45, v46, v45
	v_fma_f16 v46, v91, 0x3b76, -v167
	v_fmac_f16_e32 v136, 0xb1e1, v92
	v_add_f16_e32 v72, v145, v72
	v_add_f16_e32 v49, v50, v49
	;; [unrolled: 1-line block ×4, first 2 shown]
	v_fma_f16 v69, v93, 0x39e9, -v157
	v_fma_f16 v70, v96, 0xbacd, -v227
	v_fmac_f16_e32 v148, 0xb5c8, v92
	v_add_f16_e32 v50, v170, v50
	v_add_f16_e32 v76, v160, v76
	;; [unrolled: 1-line block ×3, first 2 shown]
	v_fma_f16 v69, v94, 0x3722, -v198
	v_add_f16_e32 v49, v70, v49
	v_add_f16_e32 v50, v83, v50
	v_fma_f16 v70, v100, 0xb461, -v226
	v_fmac_f16_e32 v168, 0x3a62, v92
	v_add_f16_e32 v46, v69, v46
	v_fma_f16 v69, v95, 0x2de8, -v199
	v_add_f16_e32 v50, v82, v50
	v_add_f16_e32 v49, v70, v49
	v_fma_f16 v70, v99, 0x3722, -v176
	v_fmac_f16_e32 v222, 0x3b29, v92
	v_add_f16_e32 v46, v69, v46
	v_fma_f16 v69, v96, 0xb461, -v187
	v_add_f16_e32 v50, v73, v50
	v_add_f16_e32 v49, v70, v49
	v_mul_lo_u16 v70, v52, 17
	v_fma_f16 v44, v101, 0x3b76, -v44
	v_add_f16_e32 v46, v69, v46
	v_fma_f16 v69, v100, 0xb8d2, -v200
	v_add_f16_e32 v50, v84, v50
	v_fmac_f16_e32 v78, 0xb1e1, v97
	v_add_f16_e32 v37, v114, v37
	v_fmac_f16_e32 v118, 0x3bf7, v97
	v_add_f16_e32 v46, v69, v46
	v_fma_f16 v69, v99, 0xbacd, -v79
	v_and_b32_e32 v70, 0xffff, v70
	v_add_f16_e32 v41, v125, v41
	v_fmac_f16_e32 v117, 0xbbb2, v97
	v_add_f16_e32 v56, v136, v56
	v_fmac_f16_e32 v127, 0x3b29, v97
	v_add_f16_e32 v72, v148, v72
	v_fmac_f16_e32 v138, 0xba62, v97
	v_add_f16_e32 v76, v168, v76
	v_fmac_f16_e32 v166, 0x3964, v97
	v_fma_f16 v47, v101, 0xbacd, -v47
	v_add_f16_e32 v45, v222, v45
	v_fmac_f16_e32 v224, 0x35c8, v97
	v_add_f16_e32 v44, v44, v49
	v_add_f16_e32 v49, v78, v50
	;; [unrolled: 1-line block ×3, first 2 shown]
	v_fma_f16 v50, v101, 0xbbdd, -v81
	v_add_f16_e32 v37, v118, v37
	v_lshl_add_u32 v54, v70, 2, v54
	v_pack_b32_f16 v42, v42, v75
	v_pack_b32_f16 v25, v25, v26
	v_add_f16_e32 v41, v117, v41
	v_add_f16_e32 v56, v127, v56
	v_pack_b32_f16 v26, v223, v40
	v_pack_b32_f16 v40, v43, v225
	v_add_f16_e32 v72, v138, v72
	v_add_f16_e32 v76, v166, v76
	;; [unrolled: 4-line block ×3, first 2 shown]
	v_pack_b32_f16 v69, v104, v103
	v_pack_b32_f16 v70, v106, v105
	v_add_f16_e32 v46, v50, v46
	ds_write2_b32 v54, v25, v42 offset1:1
	ds_write2_b32 v54, v40, v26 offset0:2 offset1:3
	ds_write2_b32 v54, v39, v43 offset0:4 offset1:5
	;; [unrolled: 1-line block ×3, first 2 shown]
	v_pack_b32_f16 v25, v38, v37
	v_pack_b32_f16 v26, v102, v98
	;; [unrolled: 1-line block ×9, first 2 shown]
	ds_write2_b32 v54, v26, v25 offset0:8 offset1:9
	ds_write2_b32 v54, v38, v37 offset0:10 offset1:11
	;; [unrolled: 1-line block ×4, first 2 shown]
	ds_write_b32 v54, v43 offset:64
.LBB0_13:
	s_or_b32 exec_lo, exec_lo, s0
	v_add_nc_u32_e32 v25, 0x400, v57
	v_add_nc_u32_e32 v26, 0xc00, v57
	s_waitcnt lgkmcnt(0)
	s_barrier
	buffer_gl0_inv
	ds_read2_b32 v[40:41], v57 offset1:85
	ds_read2_b32 v[42:43], v25 offset0:84 offset1:169
	v_add_nc_u32_e32 v37, 0x600, v57
	ds_read2_b32 v[44:45], v57 offset0:170 offset1:255
	ds_read2_b32 v[46:47], v26 offset0:82 offset1:167
	ds_read_b32 v50, v57 offset:4760
	v_add_nc_u32_e32 v38, 0xe00, v57
	v_add_nc_u32_e32 v39, 0x800, v57
	ds_read2_b32 v[48:49], v37 offset0:126 offset1:211
	ds_read2_b32 v[54:55], v38 offset0:124 offset1:209
	ds_read2_b32 v[69:70], v39 offset0:168 offset1:253
	s_waitcnt lgkmcnt(0)
	s_barrier
	buffer_gl0_inv
	v_lshrrev_b32_e32 v56, 16, v40
	v_lshrrev_b32_e32 v75, 16, v43
	v_lshrrev_b32_e32 v76, 16, v46
	v_lshrrev_b32_e32 v78, 16, v47
	v_mul_f16_sdwa v85, v35, v43 dst_sel:DWORD dst_unused:UNUSED_PAD src0_sel:WORD_1 src1_sel:DWORD
	v_mul_f16_sdwa v88, v36, v46 dst_sel:DWORD dst_unused:UNUSED_PAD src0_sel:WORD_1 src1_sel:DWORD
	v_lshrrev_b32_e32 v77, 16, v48
	v_mul_f16_sdwa v84, v35, v75 dst_sel:DWORD dst_unused:UNUSED_PAD src0_sel:WORD_1 src1_sel:DWORD
	v_mul_f16_sdwa v87, v36, v76 dst_sel:DWORD dst_unused:UNUSED_PAD src0_sel:WORD_1 src1_sel:DWORD
	v_lshrrev_b32_e32 v79, 16, v49
	v_lshrrev_b32_e32 v80, 16, v54
	;; [unrolled: 1-line block ×3, first 2 shown]
	v_fmac_f16_e32 v84, v35, v43
	v_mul_f16_sdwa v43, v33, v77 dst_sel:DWORD dst_unused:UNUSED_PAD src0_sel:WORD_1 src1_sel:DWORD
	v_fmac_f16_e32 v87, v36, v46
	v_mul_f16_sdwa v46, v33, v48 dst_sel:DWORD dst_unused:UNUSED_PAD src0_sel:WORD_1 src1_sel:DWORD
	v_fma_f16 v35, v35, v75, -v85
	v_mul_f16_sdwa v75, v34, v78 dst_sel:DWORD dst_unused:UNUSED_PAD src0_sel:WORD_1 src1_sel:DWORD
	v_fmac_f16_e32 v43, v33, v48
	v_mul_f16_sdwa v48, v34, v47 dst_sel:DWORD dst_unused:UNUSED_PAD src0_sel:WORD_1 src1_sel:DWORD
	v_fma_f16 v33, v33, v77, -v46
	;; [unrolled: 4-line block ×3, first 2 shown]
	v_mul_f16_sdwa v48, v32, v80 dst_sel:DWORD dst_unused:UNUSED_PAD src0_sel:WORD_1 src1_sel:DWORD
	v_lshrrev_b32_e32 v82, 16, v55
	v_fmac_f16_e32 v46, v31, v49
	v_mul_f16_sdwa v49, v32, v54 dst_sel:DWORD dst_unused:UNUSED_PAD src0_sel:WORD_1 src1_sel:DWORD
	v_lshrrev_b32_e32 v86, 16, v70
	v_fma_f16 v31, v31, v79, -v47
	v_mul_f16_sdwa v47, v29, v81 dst_sel:DWORD dst_unused:UNUSED_PAD src0_sel:WORD_1 src1_sel:DWORD
	v_fmac_f16_e32 v48, v32, v54
	v_mul_f16_sdwa v54, v29, v69 dst_sel:DWORD dst_unused:UNUSED_PAD src0_sel:WORD_1 src1_sel:DWORD
	v_fma_f16 v32, v32, v80, -v49
	v_mul_f16_sdwa v49, v30, v82 dst_sel:DWORD dst_unused:UNUSED_PAD src0_sel:WORD_1 src1_sel:DWORD
	v_lshrrev_b32_e32 v74, 16, v50
	v_fmac_f16_e32 v47, v29, v69
	v_mul_f16_sdwa v69, v30, v55 dst_sel:DWORD dst_unused:UNUSED_PAD src0_sel:WORD_1 src1_sel:DWORD
	v_fma_f16 v29, v29, v81, -v54
	v_mul_f16_sdwa v54, v27, v86 dst_sel:DWORD dst_unused:UNUSED_PAD src0_sel:WORD_1 src1_sel:DWORD
	v_fmac_f16_e32 v49, v30, v55
	v_mul_f16_sdwa v55, v27, v70 dst_sel:DWORD dst_unused:UNUSED_PAD src0_sel:WORD_1 src1_sel:DWORD
	v_fma_f16 v36, v36, v76, -v88
	v_fma_f16 v30, v30, v82, -v69
	v_mul_f16_sdwa v69, v28, v74 dst_sel:DWORD dst_unused:UNUSED_PAD src0_sel:WORD_1 src1_sel:DWORD
	v_fmac_f16_e32 v54, v27, v70
	v_mul_f16_sdwa v70, v28, v50 dst_sel:DWORD dst_unused:UNUSED_PAD src0_sel:WORD_1 src1_sel:DWORD
	v_fma_f16 v27, v27, v86, -v55
	v_add_f16_e32 v55, v84, v87
	v_fmac_f16_e32 v69, v28, v50
	v_add_f16_e32 v50, v40, v84
	v_fma_f16 v28, v28, v74, -v70
	v_add_f16_e32 v70, v35, v36
	v_fma_f16 v40, -0.5, v55, v40
	v_sub_f16_e32 v55, v35, v36
	v_add_f16_e32 v35, v56, v35
	v_lshrrev_b32_e32 v71, 16, v41
	v_fmac_f16_e32 v56, -0.5, v70
	v_sub_f16_e32 v70, v84, v87
	v_fmamk_f16 v74, v55, 0xbaee, v40
	v_add_f16_e32 v35, v35, v36
	v_add_f16_e32 v36, v43, v75
	v_fmac_f16_e32 v40, 0x3aee, v55
	v_fmamk_f16 v55, v70, 0x3aee, v56
	v_fmac_f16_e32 v56, 0xbaee, v70
	v_add_f16_e32 v70, v33, v34
	v_add_f16_e32 v76, v41, v43
	v_fmac_f16_e32 v41, -0.5, v36
	v_sub_f16_e32 v36, v33, v34
	v_add_f16_e32 v33, v71, v33
	v_fmac_f16_e32 v71, -0.5, v70
	v_sub_f16_e32 v43, v43, v75
	v_lshrrev_b32_e32 v72, 16, v44
	v_fmamk_f16 v70, v36, 0xbaee, v41
	v_add_f16_e32 v33, v33, v34
	v_add_f16_e32 v34, v46, v48
	v_fmac_f16_e32 v41, 0x3aee, v36
	v_fmamk_f16 v36, v43, 0x3aee, v71
	v_fmac_f16_e32 v71, 0xbaee, v43
	v_add_f16_e32 v43, v31, v32
	v_add_f16_e32 v76, v76, v75
	v_add_f16_e32 v75, v44, v46
	v_fma_f16 v34, -0.5, v34, v44
	v_sub_f16_e32 v44, v31, v32
	v_add_f16_e32 v31, v72, v31
	v_fmac_f16_e32 v72, -0.5, v43
	v_sub_f16_e32 v43, v46, v48
	v_lshrrev_b32_e32 v73, 16, v45
	v_fmamk_f16 v46, v44, 0xbaee, v34
	v_add_f16_e32 v31, v31, v32
	v_add_f16_e32 v32, v47, v49
	v_fmac_f16_e32 v34, 0x3aee, v44
	v_fmamk_f16 v44, v43, 0x3aee, v72
	v_fmac_f16_e32 v72, 0xbaee, v43
	v_add_f16_e32 v43, v29, v30
	v_add_f16_e32 v75, v75, v48
	v_add_f16_e32 v48, v45, v47
	v_fmac_f16_e32 v45, -0.5, v32
	v_sub_f16_e32 v32, v29, v30
	v_add_f16_e32 v29, v73, v29
	v_fmac_f16_e32 v73, -0.5, v43
	v_sub_f16_e32 v43, v47, v49
	v_lshrrev_b32_e32 v83, 16, v42
	v_fmamk_f16 v47, v32, 0xbaee, v45
	v_add_f16_e32 v29, v29, v30
	v_add_f16_e32 v30, v54, v69
	v_fmac_f16_e32 v45, 0x3aee, v32
	v_fmamk_f16 v32, v43, 0x3aee, v73
	v_fmac_f16_e32 v73, 0xbaee, v43
	v_add_f16_e32 v43, v27, v28
	v_add_f16_e32 v50, v50, v87
	;; [unrolled: 1-line block ×4, first 2 shown]
	v_fmac_f16_e32 v42, -0.5, v30
	v_sub_f16_e32 v30, v27, v28
	v_add_f16_e32 v27, v83, v27
	v_fmac_f16_e32 v83, -0.5, v43
	v_sub_f16_e32 v43, v54, v69
	v_pack_b32_f16 v40, v40, v56
	v_fmamk_f16 v54, v30, 0xbaee, v42
	v_fmac_f16_e32 v42, 0x3aee, v30
	v_pack_b32_f16 v30, v50, v35
	v_pack_b32_f16 v35, v74, v55
	;; [unrolled: 1-line block ×4, first 2 shown]
	v_add_f16_e32 v49, v49, v69
	v_add_f16_e32 v27, v27, v28
	v_fmamk_f16 v28, v43, 0x3aee, v83
	v_pack_b32_f16 v41, v41, v71
	v_fmac_f16_e32 v83, 0xbaee, v43
	v_pack_b32_f16 v31, v75, v31
	v_pack_b32_f16 v43, v46, v44
	ds_write2_b32 v64, v30, v35 offset1:17
	ds_write_b32 v64, v40 offset:136
	ds_write2_b32 v65, v33, v36 offset1:17
	ds_write_b32 v65, v41 offset:136
	ds_write2_b32 v62, v31, v43 offset1:17
	v_pack_b32_f16 v30, v34, v72
	v_pack_b32_f16 v29, v48, v29
	;; [unrolled: 1-line block ×7, first 2 shown]
	ds_write_b32 v62, v30 offset:136
	ds_write2_b32 v61, v29, v31 offset1:17
	ds_write_b32 v61, v32 offset:136
	ds_write2_b32 v63, v27, v28 offset1:17
	ds_write_b32 v63, v33 offset:136
	s_waitcnt lgkmcnt(0)
	s_barrier
	buffer_gl0_inv
	ds_read2_b32 v[27:28], v57 offset1:85
	ds_read2_b32 v[29:30], v57 offset0:170 offset1:255
	ds_read2_b32 v[31:32], v37 offset0:126 offset1:211
	;; [unrolled: 1-line block ×6, first 2 shown]
	ds_read_b32 v44, v57 offset:4760
	s_waitcnt lgkmcnt(0)
	s_barrier
	buffer_gl0_inv
	v_lshrrev_b32_e32 v45, 16, v27
	v_lshrrev_b32_e32 v46, 16, v30
	;; [unrolled: 1-line block ×6, first 2 shown]
	v_mul_f16_sdwa v70, v8, v46 dst_sel:DWORD dst_unused:UNUSED_PAD src0_sel:WORD_1 src1_sel:DWORD
	v_lshrrev_b32_e32 v55, 16, v32
	v_mul_f16_sdwa v71, v8, v30 dst_sel:DWORD dst_unused:UNUSED_PAD src0_sel:WORD_1 src1_sel:DWORD
	v_mul_f16_sdwa v72, v9, v47 dst_sel:DWORD dst_unused:UNUSED_PAD src0_sel:WORD_1 src1_sel:DWORD
	v_mul_f16_sdwa v73, v9, v31 dst_sel:DWORD dst_unused:UNUSED_PAD src0_sel:WORD_1 src1_sel:DWORD
	v_mul_f16_sdwa v74, v10, v48 dst_sel:DWORD dst_unused:UNUSED_PAD src0_sel:WORD_1 src1_sel:DWORD
	v_fmac_f16_e32 v70, v8, v30
	v_mul_f16_sdwa v30, v10, v34 dst_sel:DWORD dst_unused:UNUSED_PAD src0_sel:WORD_1 src1_sel:DWORD
	v_lshrrev_b32_e32 v56, 16, v42
	v_lshrrev_b32_e32 v61, 16, v36
	v_fma_f16 v8, v8, v46, -v71
	v_fmac_f16_e32 v72, v9, v31
	v_fma_f16 v9, v9, v47, -v73
	v_fmac_f16_e32 v74, v10, v34
	v_mul_f16_sdwa v31, v11, v49 dst_sel:DWORD dst_unused:UNUSED_PAD src0_sel:WORD_1 src1_sel:DWORD
	v_mul_f16_sdwa v34, v11, v35 dst_sel:DWORD dst_unused:UNUSED_PAD src0_sel:WORD_1 src1_sel:DWORD
	;; [unrolled: 1-line block ×4, first 2 shown]
	v_fma_f16 v10, v10, v48, -v30
	v_mul_f16_sdwa v30, v5, v55 dst_sel:DWORD dst_unused:UNUSED_PAD src0_sel:WORD_1 src1_sel:DWORD
	v_lshrrev_b32_e32 v63, 16, v41
	v_lshrrev_b32_e32 v64, 16, v33
	v_fmac_f16_e32 v31, v11, v35
	v_fma_f16 v11, v11, v49, -v34
	v_fmac_f16_e32 v46, v4, v40
	v_fma_f16 v4, v4, v54, -v47
	v_mul_f16_sdwa v34, v5, v32 dst_sel:DWORD dst_unused:UNUSED_PAD src0_sel:WORD_1 src1_sel:DWORD
	v_mul_f16_sdwa v35, v6, v56 dst_sel:DWORD dst_unused:UNUSED_PAD src0_sel:WORD_1 src1_sel:DWORD
	;; [unrolled: 1-line block ×4, first 2 shown]
	v_fmac_f16_e32 v30, v5, v32
	v_mul_f16_sdwa v32, v7, v36 dst_sel:DWORD dst_unused:UNUSED_PAD src0_sel:WORD_1 src1_sel:DWORD
	v_lshrrev_b32_e32 v65, 16, v43
	v_fma_f16 v5, v5, v55, -v34
	v_fmac_f16_e32 v35, v6, v42
	v_fma_f16 v6, v6, v56, -v40
	v_fmac_f16_e32 v47, v7, v36
	v_mul_f16_sdwa v34, v0, v63 dst_sel:DWORD dst_unused:UNUSED_PAD src0_sel:WORD_1 src1_sel:DWORD
	v_mul_f16_sdwa v36, v0, v41 dst_sel:DWORD dst_unused:UNUSED_PAD src0_sel:WORD_1 src1_sel:DWORD
	;; [unrolled: 1-line block ×4, first 2 shown]
	v_fma_f16 v7, v7, v61, -v32
	v_add_f16_e32 v32, v72, v74
	v_lshrrev_b32_e32 v69, 16, v44
	v_fmac_f16_e32 v34, v0, v41
	v_fma_f16 v0, v0, v63, -v36
	v_fmac_f16_e32 v40, v1, v33
	v_fma_f16 v1, v1, v64, -v42
	v_mul_f16_sdwa v33, v2, v65 dst_sel:DWORD dst_unused:UNUSED_PAD src0_sel:WORD_1 src1_sel:DWORD
	v_mul_f16_sdwa v36, v2, v43 dst_sel:DWORD dst_unused:UNUSED_PAD src0_sel:WORD_1 src1_sel:DWORD
	v_add_f16_e32 v42, v27, v70
	v_fma_f16 v32, -0.5, v32, v27
	v_sub_f16_e32 v48, v8, v11
	v_mul_f16_sdwa v41, v3, v69 dst_sel:DWORD dst_unused:UNUSED_PAD src0_sel:WORD_1 src1_sel:DWORD
	v_fmac_f16_e32 v33, v2, v43
	v_fma_f16 v2, v2, v65, -v36
	v_add_f16_e32 v36, v42, v72
	v_fmamk_f16 v42, v48, 0xbb9c, v32
	v_sub_f16_e32 v43, v9, v10
	v_sub_f16_e32 v49, v70, v72
	;; [unrolled: 1-line block ×3, first 2 shown]
	v_add_f16_e32 v55, v70, v31
	v_fmac_f16_e32 v32, 0x3b9c, v48
	v_fmac_f16_e32 v41, v3, v44
	v_mul_f16_sdwa v44, v3, v44 dst_sel:DWORD dst_unused:UNUSED_PAD src0_sel:WORD_1 src1_sel:DWORD
	v_add_f16_e32 v36, v36, v74
	v_fmac_f16_e32 v42, 0xb8b4, v43
	v_add_f16_e32 v49, v49, v54
	v_fma_f16 v27, -0.5, v55, v27
	v_sub_f16_e32 v54, v72, v70
	v_sub_f16_e32 v55, v74, v31
	v_fmac_f16_e32 v32, 0x38b4, v43
	v_add_f16_e32 v56, v45, v8
	v_add_f16_e32 v61, v9, v10
	v_fma_f16 v3, v3, v69, -v44
	v_add_f16_e32 v36, v36, v31
	v_fmac_f16_e32 v42, 0x34f2, v49
	v_fmamk_f16 v44, v43, 0x3b9c, v27
	v_add_f16_e32 v54, v54, v55
	v_fmac_f16_e32 v27, 0xbb9c, v43
	v_add_f16_e32 v43, v56, v9
	v_fma_f16 v55, -0.5, v61, v45
	v_sub_f16_e32 v31, v70, v31
	v_fmac_f16_e32 v32, 0x34f2, v49
	v_add_f16_e32 v49, v8, v11
	v_sub_f16_e32 v61, v8, v9
	v_sub_f16_e32 v8, v9, v8
	;; [unrolled: 1-line block ×3, first 2 shown]
	v_fmac_f16_e32 v44, 0xb8b4, v48
	v_fmac_f16_e32 v27, 0x38b4, v48
	v_add_f16_e32 v43, v43, v10
	v_fmamk_f16 v48, v31, 0x3b9c, v55
	v_sub_f16_e32 v56, v72, v74
	v_sub_f16_e32 v63, v11, v10
	v_fmac_f16_e32 v45, -0.5, v49
	v_fmac_f16_e32 v55, 0xbb9c, v31
	v_add_f16_e32 v10, v30, v35
	v_add_f16_e32 v8, v8, v9
	;; [unrolled: 1-line block ×3, first 2 shown]
	v_lshrrev_b32_e32 v50, 16, v28
	v_fmac_f16_e32 v44, 0x34f2, v54
	v_fmac_f16_e32 v27, 0x34f2, v54
	v_add_f16_e32 v43, v43, v11
	v_fmac_f16_e32 v48, 0x38b4, v56
	v_add_f16_e32 v49, v61, v63
	v_fmamk_f16 v54, v56, 0xbb9c, v45
	v_fmac_f16_e32 v55, 0xb8b4, v56
	v_fma_f16 v10, -0.5, v10, v28
	v_sub_f16_e32 v11, v4, v7
	v_fmac_f16_e32 v45, 0x3b9c, v56
	v_add_f16_e32 v9, v9, v30
	v_sub_f16_e32 v61, v46, v30
	v_sub_f16_e32 v63, v47, v35
	v_add_f16_e32 v64, v46, v47
	v_fmac_f16_e32 v48, 0x34f2, v49
	v_fmac_f16_e32 v54, 0x38b4, v31
	;; [unrolled: 1-line block ×3, first 2 shown]
	v_fmamk_f16 v49, v11, 0xbb9c, v10
	v_sub_f16_e32 v56, v5, v6
	v_fmac_f16_e32 v45, 0xb8b4, v31
	v_add_f16_e32 v9, v9, v35
	v_add_f16_e32 v31, v61, v63
	v_fmac_f16_e32 v28, -0.5, v64
	v_fmac_f16_e32 v10, 0x3b9c, v11
	v_sub_f16_e32 v61, v30, v46
	v_sub_f16_e32 v63, v35, v47
	v_add_f16_e32 v64, v50, v4
	v_add_f16_e32 v65, v5, v6
	v_fmac_f16_e32 v54, 0x34f2, v8
	v_fmac_f16_e32 v49, 0xb8b4, v56
	;; [unrolled: 1-line block ×3, first 2 shown]
	v_add_f16_e32 v8, v9, v47
	v_fmamk_f16 v9, v56, 0x3b9c, v28
	v_fmac_f16_e32 v10, 0x38b4, v56
	v_add_f16_e32 v61, v61, v63
	v_fmac_f16_e32 v28, 0xbb9c, v56
	v_add_f16_e32 v56, v64, v5
	v_fma_f16 v63, -0.5, v65, v50
	v_sub_f16_e32 v46, v46, v47
	v_add_f16_e32 v47, v4, v7
	v_fmac_f16_e32 v49, 0x34f2, v31
	v_fmac_f16_e32 v9, 0xb8b4, v11
	v_fmac_f16_e32 v10, 0x34f2, v31
	v_fmac_f16_e32 v28, 0x38b4, v11
	v_add_f16_e32 v11, v56, v6
	v_fmamk_f16 v31, v46, 0x3b9c, v63
	v_sub_f16_e32 v30, v30, v35
	v_sub_f16_e32 v35, v4, v5
	;; [unrolled: 1-line block ×3, first 2 shown]
	v_fmac_f16_e32 v50, -0.5, v47
	v_fmac_f16_e32 v63, 0xbb9c, v46
	v_sub_f16_e32 v4, v5, v4
	v_sub_f16_e32 v5, v6, v7
	v_add_f16_e32 v6, v40, v33
	v_add_f16_e32 v11, v11, v7
	v_fmac_f16_e32 v31, 0x38b4, v30
	v_add_f16_e32 v35, v35, v56
	v_fmamk_f16 v47, v30, 0xbb9c, v50
	v_fmac_f16_e32 v63, 0xb8b4, v30
	v_add_f16_e32 v4, v4, v5
	v_fmac_f16_e32 v50, 0x3b9c, v30
	v_add_f16_e32 v5, v29, v34
	v_fma_f16 v6, -0.5, v6, v29
	v_sub_f16_e32 v7, v0, v3
	v_fmac_f16_e32 v9, 0x34f2, v61
	v_fmac_f16_e32 v28, 0x34f2, v61
	;; [unrolled: 1-line block ×6, first 2 shown]
	v_add_f16_e32 v5, v5, v40
	v_fmamk_f16 v30, v7, 0xbb9c, v6
	v_sub_f16_e32 v35, v1, v2
	v_sub_f16_e32 v46, v34, v40
	;; [unrolled: 1-line block ×3, first 2 shown]
	v_fmac_f16_e32 v6, 0x3b9c, v7
	v_add_f16_e32 v61, v34, v41
	v_lshrrev_b32_e32 v62, 16, v29
	v_add_f16_e32 v5, v5, v33
	v_fmac_f16_e32 v30, 0xb8b4, v35
	v_add_f16_e32 v46, v46, v56
	v_fmac_f16_e32 v6, 0x38b4, v35
	v_fmac_f16_e32 v29, -0.5, v61
	v_sub_f16_e32 v56, v40, v34
	v_sub_f16_e32 v61, v33, v41
	v_fmac_f16_e32 v47, 0x34f2, v4
	v_fmac_f16_e32 v50, 0x34f2, v4
	v_add_f16_e32 v4, v5, v41
	v_fmac_f16_e32 v30, 0x34f2, v46
	v_fmac_f16_e32 v6, 0x34f2, v46
	v_fmamk_f16 v5, v35, 0x3b9c, v29
	v_add_f16_e32 v46, v1, v2
	v_fmac_f16_e32 v29, 0xbb9c, v35
	v_sub_f16_e32 v34, v34, v41
	v_add_f16_e32 v41, v56, v61
	v_add_f16_e32 v56, v0, v3
	;; [unrolled: 1-line block ×3, first 2 shown]
	v_fma_f16 v46, -0.5, v46, v62
	v_fmac_f16_e32 v5, 0xb8b4, v7
	v_fmac_f16_e32 v29, 0x38b4, v7
	v_sub_f16_e32 v33, v40, v33
	v_fmac_f16_e32 v62, -0.5, v56
	v_add_f16_e32 v7, v35, v1
	v_fmamk_f16 v35, v34, 0x3b9c, v46
	v_fmac_f16_e32 v5, 0x34f2, v41
	v_fmac_f16_e32 v29, 0x34f2, v41
	v_sub_f16_e32 v40, v0, v1
	v_sub_f16_e32 v41, v3, v2
	v_fmac_f16_e32 v46, 0xbb9c, v34
	v_fmamk_f16 v56, v33, 0xbb9c, v62
	v_sub_f16_e32 v0, v1, v0
	v_sub_f16_e32 v1, v2, v3
	v_fmac_f16_e32 v62, 0x3b9c, v33
	v_add_f16_e32 v7, v7, v2
	v_fmac_f16_e32 v35, 0x38b4, v33
	v_add_f16_e32 v2, v40, v41
	v_fmac_f16_e32 v46, 0xb8b4, v33
	v_fmac_f16_e32 v56, 0x38b4, v34
	v_add_f16_e32 v0, v0, v1
	v_fmac_f16_e32 v62, 0xb8b4, v34
	v_fmac_f16_e32 v35, 0x34f2, v2
	;; [unrolled: 1-line block ×3, first 2 shown]
	v_pack_b32_f16 v2, v42, v48
	v_fmac_f16_e32 v56, 0x34f2, v0
	v_fmac_f16_e32 v62, 0x34f2, v0
	v_pack_b32_f16 v0, v36, v43
	v_add_f16_e32 v1, v7, v3
	v_pack_b32_f16 v3, v44, v54
	v_pack_b32_f16 v7, v27, v45
	;; [unrolled: 1-line block ×5, first 2 shown]
	ds_write2_b32 v60, v0, v2 offset1:51
	ds_write2_b32 v60, v3, v7 offset0:102 offset1:153
	ds_write_b32 v60, v27 offset:816
	ds_write2_b32 v59, v8, v11 offset1:51
	v_pack_b32_f16 v0, v9, v47
	v_pack_b32_f16 v2, v28, v50
	;; [unrolled: 1-line block ×8, first 2 shown]
	ds_write2_b32 v59, v0, v2 offset0:102 offset1:153
	ds_write_b32 v59, v3 offset:816
	ds_write2_b32 v58, v1, v4 offset1:51
	ds_write2_b32 v58, v5, v7 offset0:102 offset1:153
	ds_write_b32 v58, v6 offset:816
	s_waitcnt lgkmcnt(0)
	s_barrier
	buffer_gl0_inv
	ds_read2_b32 v[0:1], v57 offset1:85
	ds_read2_b32 v[2:3], v57 offset0:170 offset1:255
	ds_read2_b32 v[4:5], v37 offset0:126 offset1:211
	;; [unrolled: 1-line block ×6, first 2 shown]
	ds_read_b32 v27, v57 offset:4760
	s_waitcnt lgkmcnt(7)
	v_lshrrev_b32_e32 v28, 16, v0
	s_waitcnt lgkmcnt(6)
	v_lshrrev_b32_e32 v29, 16, v3
	;; [unrolled: 2-line block ×6, first 2 shown]
	v_mul_f16_sdwa v43, v20, v29 dst_sel:DWORD dst_unused:UNUSED_PAD src0_sel:WORD_1 src1_sel:DWORD
	v_mul_f16_sdwa v44, v20, v3 dst_sel:DWORD dst_unused:UNUSED_PAD src0_sel:WORD_1 src1_sel:DWORD
	;; [unrolled: 1-line block ×5, first 2 shown]
	v_lshrrev_b32_e32 v35, 16, v5
	s_waitcnt lgkmcnt(1)
	v_lshrrev_b32_e32 v36, 16, v25
	v_fmac_f16_e32 v43, v20, v3
	v_fma_f16 v3, v20, v29, -v44
	v_fmac_f16_e32 v45, v21, v4
	v_fma_f16 v4, v21, v30, -v46
	v_fmac_f16_e32 v47, v22, v7
	v_mul_f16_sdwa v7, v22, v7 dst_sel:DWORD dst_unused:UNUSED_PAD src0_sel:WORD_1 src1_sel:DWORD
	v_mul_f16_sdwa v20, v23, v32 dst_sel:DWORD dst_unused:UNUSED_PAD src0_sel:WORD_1 src1_sel:DWORD
	v_mul_f16_sdwa v21, v23, v8 dst_sel:DWORD dst_unused:UNUSED_PAD src0_sel:WORD_1 src1_sel:DWORD
	v_mul_f16_sdwa v29, v16, v34 dst_sel:DWORD dst_unused:UNUSED_PAD src0_sel:WORD_1 src1_sel:DWORD
	v_mul_f16_sdwa v30, v16, v10 dst_sel:DWORD dst_unused:UNUSED_PAD src0_sel:WORD_1 src1_sel:DWORD
	v_lshrrev_b32_e32 v37, 16, v9
	v_lshrrev_b32_e32 v39, 16, v11
	v_fma_f16 v7, v22, v31, -v7
	v_fmac_f16_e32 v20, v23, v8
	v_fma_f16 v8, v23, v32, -v21
	v_fmac_f16_e32 v29, v16, v10
	v_fma_f16 v10, v16, v34, -v30
	v_mul_f16_sdwa v16, v17, v35 dst_sel:DWORD dst_unused:UNUSED_PAD src0_sel:WORD_1 src1_sel:DWORD
	v_mul_f16_sdwa v21, v17, v5 dst_sel:DWORD dst_unused:UNUSED_PAD src0_sel:WORD_1 src1_sel:DWORD
	;; [unrolled: 1-line block ×4, first 2 shown]
	v_lshrrev_b32_e32 v40, 16, v6
	v_mul_f16_sdwa v30, v19, v37 dst_sel:DWORD dst_unused:UNUSED_PAD src0_sel:WORD_1 src1_sel:DWORD
	v_fmac_f16_e32 v16, v17, v5
	v_fma_f16 v5, v17, v35, -v21
	v_fmac_f16_e32 v22, v18, v25
	v_fma_f16 v17, v18, v36, -v23
	v_mul_f16_sdwa v18, v12, v39 dst_sel:DWORD dst_unused:UNUSED_PAD src0_sel:WORD_1 src1_sel:DWORD
	v_mul_f16_sdwa v21, v12, v11 dst_sel:DWORD dst_unused:UNUSED_PAD src0_sel:WORD_1 src1_sel:DWORD
	v_lshrrev_b32_e32 v41, 16, v26
	v_fmac_f16_e32 v30, v19, v9
	v_mul_f16_sdwa v9, v19, v9 dst_sel:DWORD dst_unused:UNUSED_PAD src0_sel:WORD_1 src1_sel:DWORD
	v_mul_f16_sdwa v23, v13, v40 dst_sel:DWORD dst_unused:UNUSED_PAD src0_sel:WORD_1 src1_sel:DWORD
	;; [unrolled: 1-line block ×3, first 2 shown]
	v_fmac_f16_e32 v18, v12, v11
	v_fma_f16 v11, v12, v39, -v21
	v_add_f16_e32 v12, v45, v47
	s_waitcnt lgkmcnt(0)
	v_lshrrev_b32_e32 v42, 16, v27
	v_fma_f16 v9, v19, v37, -v9
	v_fmac_f16_e32 v23, v13, v6
	v_fma_f16 v6, v13, v40, -v25
	v_mul_f16_sdwa v13, v14, v41 dst_sel:DWORD dst_unused:UNUSED_PAD src0_sel:WORD_1 src1_sel:DWORD
	v_mul_f16_sdwa v19, v14, v26 dst_sel:DWORD dst_unused:UNUSED_PAD src0_sel:WORD_1 src1_sel:DWORD
	v_add_f16_e32 v25, v0, v43
	v_fma_f16 v12, -0.5, v12, v0
	v_sub_f16_e32 v31, v3, v8
	v_mul_f16_sdwa v21, v15, v42 dst_sel:DWORD dst_unused:UNUSED_PAD src0_sel:WORD_1 src1_sel:DWORD
	v_fmac_f16_e32 v13, v14, v26
	v_fma_f16 v14, v14, v41, -v19
	v_add_f16_e32 v19, v25, v45
	v_fmamk_f16 v25, v31, 0xbb9c, v12
	v_sub_f16_e32 v26, v4, v7
	v_sub_f16_e32 v32, v43, v45
	;; [unrolled: 1-line block ×3, first 2 shown]
	v_add_f16_e32 v35, v43, v20
	v_fmac_f16_e32 v12, 0x3b9c, v31
	v_fmac_f16_e32 v21, v15, v27
	v_mul_f16_sdwa v27, v15, v27 dst_sel:DWORD dst_unused:UNUSED_PAD src0_sel:WORD_1 src1_sel:DWORD
	v_add_f16_e32 v19, v19, v47
	v_fmac_f16_e32 v25, 0xb8b4, v26
	v_add_f16_e32 v32, v32, v34
	v_fma_f16 v0, -0.5, v35, v0
	v_sub_f16_e32 v34, v45, v43
	v_sub_f16_e32 v35, v47, v20
	v_fmac_f16_e32 v12, 0x38b4, v26
	v_add_f16_e32 v36, v28, v3
	v_add_f16_e32 v37, v4, v7
	v_fma_f16 v15, v15, v42, -v27
	v_add_f16_e32 v19, v19, v20
	v_fmac_f16_e32 v25, 0x34f2, v32
	v_fmamk_f16 v27, v26, 0x3b9c, v0
	v_add_f16_e32 v34, v34, v35
	v_fmac_f16_e32 v0, 0xbb9c, v26
	v_add_f16_e32 v26, v36, v4
	v_fma_f16 v35, -0.5, v37, v28
	v_sub_f16_e32 v20, v43, v20
	v_fmac_f16_e32 v12, 0x34f2, v32
	v_add_f16_e32 v32, v3, v8
	v_sub_f16_e32 v37, v3, v4
	v_sub_f16_e32 v3, v4, v3
	;; [unrolled: 1-line block ×3, first 2 shown]
	v_fmac_f16_e32 v27, 0xb8b4, v31
	v_fmac_f16_e32 v0, 0x38b4, v31
	v_add_f16_e32 v26, v26, v7
	v_fmamk_f16 v31, v20, 0x3b9c, v35
	v_sub_f16_e32 v36, v45, v47
	v_sub_f16_e32 v39, v8, v7
	v_fmac_f16_e32 v28, -0.5, v32
	v_fmac_f16_e32 v35, 0xbb9c, v20
	v_add_f16_e32 v7, v16, v22
	v_add_f16_e32 v3, v3, v4
	;; [unrolled: 1-line block ×3, first 2 shown]
	v_lshrrev_b32_e32 v33, 16, v1
	v_fmac_f16_e32 v27, 0x34f2, v34
	v_fmac_f16_e32 v0, 0x34f2, v34
	v_add_f16_e32 v26, v26, v8
	v_fmac_f16_e32 v31, 0x38b4, v36
	v_add_f16_e32 v32, v37, v39
	v_fmamk_f16 v34, v36, 0xbb9c, v28
	v_fmac_f16_e32 v35, 0xb8b4, v36
	v_fma_f16 v7, -0.5, v7, v1
	v_sub_f16_e32 v8, v10, v9
	v_fmac_f16_e32 v28, 0x3b9c, v36
	v_add_f16_e32 v4, v4, v16
	v_add_f16_e32 v40, v29, v30
	v_fmac_f16_e32 v31, 0x34f2, v32
	v_fmac_f16_e32 v34, 0x38b4, v20
	;; [unrolled: 1-line block ×3, first 2 shown]
	v_fmamk_f16 v32, v8, 0xbb9c, v7
	v_sub_f16_e32 v36, v5, v17
	v_fmac_f16_e32 v28, 0xb8b4, v20
	v_add_f16_e32 v4, v4, v22
	v_fmac_f16_e32 v1, -0.5, v40
	v_fmac_f16_e32 v7, 0x3b9c, v8
	v_add_f16_e32 v40, v33, v10
	v_fmac_f16_e32 v34, 0x34f2, v3
	v_sub_f16_e32 v37, v29, v16
	v_sub_f16_e32 v39, v30, v22
	v_fmac_f16_e32 v32, 0xb8b4, v36
	v_fmac_f16_e32 v28, 0x34f2, v3
	v_add_f16_e32 v3, v4, v30
	v_fmamk_f16 v4, v36, 0x3b9c, v1
	v_fmac_f16_e32 v7, 0x38b4, v36
	v_fmac_f16_e32 v1, 0xbb9c, v36
	v_add_f16_e32 v36, v40, v5
	v_add_f16_e32 v20, v37, v39
	v_sub_f16_e32 v37, v16, v29
	v_sub_f16_e32 v39, v22, v30
	v_add_f16_e32 v41, v5, v17
	v_fmac_f16_e32 v4, 0xb8b4, v8
	v_sub_f16_e32 v29, v29, v30
	v_fmac_f16_e32 v1, 0x38b4, v8
	v_add_f16_e32 v8, v36, v17
	v_add_f16_e32 v30, v10, v9
	;; [unrolled: 1-line block ×3, first 2 shown]
	v_fma_f16 v39, -0.5, v41, v33
	v_sub_f16_e32 v16, v16, v22
	v_sub_f16_e32 v22, v10, v5
	;; [unrolled: 1-line block ×3, first 2 shown]
	v_fmac_f16_e32 v33, -0.5, v30
	v_add_f16_e32 v8, v8, v9
	v_sub_f16_e32 v5, v5, v10
	v_sub_f16_e32 v9, v17, v9
	v_fmac_f16_e32 v32, 0x34f2, v20
	v_fmac_f16_e32 v7, 0x34f2, v20
	v_fmamk_f16 v20, v29, 0x3b9c, v39
	v_fmac_f16_e32 v39, 0xbb9c, v29
	v_fmamk_f16 v30, v16, 0xbb9c, v33
	v_add_f16_e32 v5, v5, v9
	v_add_f16_e32 v9, v2, v18
	v_fmac_f16_e32 v33, 0x3b9c, v16
	v_fmac_f16_e32 v20, 0x38b4, v16
	v_add_f16_e32 v22, v22, v36
	v_add_f16_e32 v10, v23, v13
	v_fmac_f16_e32 v39, 0xb8b4, v16
	v_fmac_f16_e32 v30, 0x38b4, v29
	v_add_f16_e32 v9, v9, v23
	v_fmac_f16_e32 v33, 0xb8b4, v29
	v_add_f16_e32 v29, v18, v21
	v_lshrrev_b32_e32 v38, 16, v2
	v_fmac_f16_e32 v4, 0x34f2, v37
	v_fmac_f16_e32 v1, 0x34f2, v37
	;; [unrolled: 1-line block ×3, first 2 shown]
	v_fma_f16 v10, -0.5, v10, v2
	v_fmac_f16_e32 v39, 0x34f2, v22
	v_sub_f16_e32 v22, v6, v14
	v_sub_f16_e32 v36, v18, v23
	;; [unrolled: 1-line block ×3, first 2 shown]
	v_add_f16_e32 v9, v9, v13
	v_fmac_f16_e32 v2, -0.5, v29
	v_sub_f16_e32 v17, v11, v15
	v_fmac_f16_e32 v30, 0x34f2, v5
	v_add_f16_e32 v36, v36, v37
	v_fmac_f16_e32 v33, 0x34f2, v5
	v_add_f16_e32 v5, v9, v21
	v_fmamk_f16 v9, v22, 0x3b9c, v2
	v_sub_f16_e32 v29, v23, v18
	v_sub_f16_e32 v37, v13, v21
	v_fmac_f16_e32 v2, 0xbb9c, v22
	v_fmamk_f16 v16, v17, 0xbb9c, v10
	v_fmac_f16_e32 v10, 0x3b9c, v17
	v_fmac_f16_e32 v9, 0xb8b4, v17
	v_add_f16_e32 v29, v29, v37
	v_fmac_f16_e32 v2, 0x38b4, v17
	v_fmac_f16_e32 v16, 0xb8b4, v22
	;; [unrolled: 1-line block ×3, first 2 shown]
	v_add_f16_e32 v22, v38, v11
	v_add_f16_e32 v40, v6, v14
	v_fmac_f16_e32 v9, 0x34f2, v29
	v_fmac_f16_e32 v2, 0x34f2, v29
	v_add_f16_e32 v29, v11, v15
	v_add_f16_e32 v17, v22, v6
	v_fma_f16 v22, -0.5, v40, v38
	v_sub_f16_e32 v18, v18, v21
	v_sub_f16_e32 v13, v23, v13
	v_fmac_f16_e32 v38, -0.5, v29
	v_fmac_f16_e32 v16, 0x34f2, v36
	v_fmac_f16_e32 v10, 0x34f2, v36
	v_fmamk_f16 v21, v18, 0x3b9c, v22
	v_sub_f16_e32 v23, v11, v6
	v_sub_f16_e32 v36, v15, v14
	v_fmamk_f16 v29, v13, 0xbb9c, v38
	v_sub_f16_e32 v6, v6, v11
	v_sub_f16_e32 v11, v14, v15
	v_fmac_f16_e32 v22, 0xbb9c, v18
	v_fmac_f16_e32 v38, 0x3b9c, v13
	v_add_f16_e32 v17, v17, v14
	v_fmac_f16_e32 v21, 0x38b4, v13
	v_add_f16_e32 v23, v23, v36
	;; [unrolled: 2-line block ×3, first 2 shown]
	v_fmac_f16_e32 v22, 0xb8b4, v13
	v_fmac_f16_e32 v38, 0xb8b4, v18
	v_pack_b32_f16 v11, v19, v26
	v_add_f16_e32 v17, v17, v15
	v_pack_b32_f16 v13, v25, v31
	v_pack_b32_f16 v14, v27, v34
	v_add_nc_u32_e32 v15, 0x3fc, v53
	v_pack_b32_f16 v0, v0, v28
	v_pack_b32_f16 v12, v12, v35
	v_add_nc_u32_e32 v18, 0xbf4, v53
	v_fmac_f16_e32 v21, 0x34f2, v23
	v_fmac_f16_e32 v29, 0x34f2, v6
	;; [unrolled: 1-line block ×4, first 2 shown]
	ds_write_b32 v66, v11
	ds_write2_b32 v15, v13, v14 offset1:255
	ds_write2_b32 v18, v0, v12 offset1:255
	v_pack_b32_f16 v0, v3, v8
	v_pack_b32_f16 v3, v32, v20
	;; [unrolled: 1-line block ×3, first 2 shown]
	v_add_nc_u32_e32 v6, 0x3fc, v68
	v_pack_b32_f16 v1, v1, v33
	v_pack_b32_f16 v7, v7, v39
	v_add_nc_u32_e32 v8, 0xbf4, v68
	v_pack_b32_f16 v5, v5, v17
	v_pack_b32_f16 v11, v16, v21
	v_pack_b32_f16 v9, v9, v29
	v_add_nc_u32_e32 v12, 0x3fc, v67
	v_pack_b32_f16 v2, v2, v38
	v_pack_b32_f16 v10, v10, v22
	v_add_nc_u32_e32 v13, 0xbf4, v67
	ds_write2_b32 v6, v3, v4 offset1:255
	ds_write2_b32 v8, v1, v7 offset1:255
	ds_write2_b32 v53, v0, v5 offset0:85 offset1:170
	ds_write2_b32 v12, v11, v9 offset1:255
	ds_write2_b32 v13, v2, v10 offset1:255
	s_waitcnt lgkmcnt(0)
	s_barrier
	buffer_gl0_inv
	s_and_b32 exec_lo, exec_lo, vcc_lo
	s_cbranch_execz .LBB0_15
; %bb.14:
	global_load_dword v0, v51, s[12:13]
	ds_read_b32 v1, v66
	s_mov_b32 s8, 0xe68019b3
	s_mov_b32 s9, 0x3f49b34c
	v_mad_u64_u32 v[6:7], null, s4, v52, 0
	s_mul_hi_u32 s3, s4, 0x12c
	s_mulk_i32 s4, 0x12c
	s_waitcnt lgkmcnt(0)
	v_lshrrev_b32_e32 v2, 16, v1
	s_waitcnt vmcnt(0)
	v_mul_f16_sdwa v3, v2, v0 dst_sel:DWORD dst_unused:UNUSED_PAD src0_sel:DWORD src1_sel:WORD_1
	v_mul_f16_sdwa v4, v1, v0 dst_sel:DWORD dst_unused:UNUSED_PAD src0_sel:DWORD src1_sel:WORD_1
	v_fmac_f16_e32 v3, v1, v0
	v_fma_f16 v0, v0, v2, -v4
	v_mad_u64_u32 v[4:5], null, s6, v24, 0
	v_cvt_f32_f16_e32 v1, v3
	v_cvt_f32_f16_e32 v2, v0
	v_cvt_f64_f32_e32 v[0:1], v1
	v_cvt_f64_f32_e32 v[2:3], v2
	v_mul_f64 v[0:1], v[0:1], s[8:9]
	v_mul_f64 v[2:3], v[2:3], s[8:9]
	v_and_or_b32 v0, 0x1ff, v1, v0
	v_and_or_b32 v2, 0x1ff, v3, v2
	v_lshrrev_b32_e32 v8, 8, v1
	v_bfe_u32 v10, v1, 20, 11
	v_lshrrev_b32_e32 v9, 8, v3
	v_cmp_ne_u32_e32 vcc_lo, 0, v0
	v_bfe_u32 v11, v3, 20, 11
	v_mov_b32_e32 v0, v7
	v_sub_nc_u32_e32 v13, 0x3f1, v10
	v_add_nc_u32_e32 v10, 0xfffffc10, v10
	v_cndmask_b32_e64 v12, 0, 1, vcc_lo
	v_cmp_ne_u32_e32 vcc_lo, 0, v2
	v_sub_nc_u32_e32 v14, 0x3f1, v11
	v_med3_i32 v13, v13, 0, 13
	v_add_nc_u32_e32 v11, 0xfffffc10, v11
	v_and_or_b32 v12, 0xffe, v8, v12
	v_cndmask_b32_e64 v2, 0, 1, vcc_lo
	v_mad_u64_u32 v[7:8], null, s7, v24, v[5:6]
	v_med3_i32 v14, v14, 0, 13
	v_or_b32_e32 v15, 0x1000, v12
	v_and_or_b32 v2, 0xffe, v9, v2
	v_mad_u64_u32 v[8:9], null, s5, v52, v[0:1]
	v_lshrrev_b32_e32 v3, 16, v3
	v_lshrrev_b32_e32 v0, v13, v15
	v_or_b32_e32 v16, 0x1000, v2
	v_mov_b32_e32 v5, v7
	v_mov_b32_e32 v7, v8
	v_lshrrev_b32_e32 v9, v14, v16
	v_lshlrev_b32_e32 v13, v13, v0
	v_lshlrev_b64 v[4:5], 2, v[4:5]
	v_lshlrev_b32_e32 v8, v14, v9
	v_cmp_ne_u32_e32 vcc_lo, v13, v15
	v_lshl_or_b32 v14, v10, 12, v12
	v_cndmask_b32_e64 v13, 0, 1, vcc_lo
	v_cmp_ne_u32_e32 vcc_lo, v8, v16
	v_or_b32_e32 v0, v0, v13
	v_cndmask_b32_e64 v8, 0, 1, vcc_lo
	v_cmp_gt_i32_e32 vcc_lo, 1, v10
	v_lshl_or_b32 v13, v11, 12, v2
	v_or_b32_e32 v8, v9, v8
	v_cndmask_b32_e32 v0, v14, v0, vcc_lo
	v_cmp_gt_i32_e32 vcc_lo, 1, v11
	v_lshrrev_b32_e32 v9, 16, v1
	v_cndmask_b32_e32 v1, v13, v8, vcc_lo
	v_cmp_ne_u32_e32 vcc_lo, 0, v12
	v_and_b32_e32 v12, 7, v0
	v_lshrrev_b32_e32 v0, 2, v0
	v_and_b32_e32 v13, 7, v1
	v_cndmask_b32_e64 v8, 0, 1, vcc_lo
	v_cmp_ne_u32_e32 vcc_lo, 0, v2
	v_cmp_eq_u32_e64 s0, 3, v12
	v_lshrrev_b32_e32 v1, 2, v1
	v_cmp_lt_i32_e64 s1, 5, v13
	v_cmp_eq_u32_e64 s2, 3, v13
	v_cndmask_b32_e64 v2, 0, 1, vcc_lo
	v_cmp_lt_i32_e32 vcc_lo, 5, v12
	v_lshl_or_b32 v8, v8, 9, 0x7c00
	v_lshl_or_b32 v2, v2, 9, 0x7c00
	s_or_b32 vcc_lo, s0, vcc_lo
	v_add_co_ci_u32_e32 v0, vcc_lo, 0, v0, vcc_lo
	s_or_b32 vcc_lo, s2, s1
	v_add_co_ci_u32_e32 v1, vcc_lo, 0, v1, vcc_lo
	v_cmp_gt_i32_e32 vcc_lo, 31, v10
	v_cndmask_b32_e32 v0, 0x7c00, v0, vcc_lo
	v_cmp_gt_i32_e32 vcc_lo, 31, v11
	v_cndmask_b32_e32 v12, 0x7c00, v1, vcc_lo
	v_cmp_eq_u32_e32 vcc_lo, 0x40f, v10
	v_cndmask_b32_e32 v8, v0, v8, vcc_lo
	v_cmp_eq_u32_e32 vcc_lo, 0x40f, v11
	v_lshlrev_b64 v[0:1], 2, v[6:7]
	v_and_or_b32 v6, 0x8000, v9, v8
	v_cndmask_b32_e32 v2, v12, v2, vcc_lo
	v_add_co_u32 v4, vcc_lo, s14, v4
	v_add_co_ci_u32_e32 v5, vcc_lo, s15, v5, vcc_lo
	v_and_or_b32 v2, 0x8000, v3, v2
	v_and_b32_e32 v3, 0xffff, v6
	v_add_co_u32 v0, vcc_lo, v4, v0
	v_add_co_ci_u32_e32 v1, vcc_lo, v5, v1, vcc_lo
	v_lshl_or_b32 v2, v2, 16, v3
	global_store_dword v[0:1], v2, off
	global_load_dword v4, v51, s[12:13] offset:300
	ds_read2_b32 v[2:3], v53 offset0:75 offset1:150
	s_waitcnt lgkmcnt(0)
	v_lshrrev_b32_e32 v5, 16, v2
	s_waitcnt vmcnt(0)
	v_mul_f16_sdwa v6, v5, v4 dst_sel:DWORD dst_unused:UNUSED_PAD src0_sel:DWORD src1_sel:WORD_1
	v_mul_f16_sdwa v7, v2, v4 dst_sel:DWORD dst_unused:UNUSED_PAD src0_sel:DWORD src1_sel:WORD_1
	v_fmac_f16_e32 v6, v2, v4
	v_fma_f16 v2, v4, v5, -v7
	v_cvt_f32_f16_e32 v4, v6
	v_cvt_f32_f16_e32 v2, v2
	v_cvt_f64_f32_e32 v[4:5], v4
	v_cvt_f64_f32_e32 v[6:7], v2
	v_mul_f64 v[4:5], v[4:5], s[8:9]
	v_mul_f64 v[6:7], v[6:7], s[8:9]
	v_and_or_b32 v2, 0x1ff, v5, v4
	v_and_or_b32 v6, 0x1ff, v7, v6
	v_lshrrev_b32_e32 v4, 8, v5
	v_bfe_u32 v8, v5, 20, 11
	v_lshrrev_b32_e32 v9, 8, v7
	v_cmp_ne_u32_e32 vcc_lo, 0, v2
	v_bfe_u32 v10, v7, 20, 11
	v_lshrrev_b32_e32 v5, 16, v5
	v_sub_nc_u32_e32 v11, 0x3f1, v8
	v_add_nc_u32_e32 v8, 0xfffffc10, v8
	v_cndmask_b32_e64 v2, 0, 1, vcc_lo
	v_cmp_ne_u32_e32 vcc_lo, 0, v6
	v_lshrrev_b32_e32 v7, 16, v7
	v_and_or_b32 v2, 0xffe, v4, v2
	v_cndmask_b32_e64 v6, 0, 1, vcc_lo
	v_sub_nc_u32_e32 v4, 0x3f1, v10
	v_add_nc_u32_e32 v10, 0xfffffc10, v10
	v_and_or_b32 v6, 0xffe, v9, v6
	v_med3_i32 v9, v11, 0, 13
	v_or_b32_e32 v11, 0x1000, v2
	v_med3_i32 v4, v4, 0, 13
	v_or_b32_e32 v12, 0x1000, v6
	v_lshrrev_b32_e32 v13, v9, v11
	v_lshrrev_b32_e32 v14, v4, v12
	v_lshlrev_b32_e32 v9, v9, v13
	v_lshlrev_b32_e32 v4, v4, v14
	v_cmp_ne_u32_e32 vcc_lo, v9, v11
	v_lshl_or_b32 v11, v8, 12, v2
	v_cndmask_b32_e64 v9, 0, 1, vcc_lo
	v_cmp_ne_u32_e32 vcc_lo, v4, v12
	v_lshl_or_b32 v12, v10, 12, v6
	v_or_b32_e32 v9, v13, v9
	v_cndmask_b32_e64 v4, 0, 1, vcc_lo
	v_cmp_gt_i32_e32 vcc_lo, 1, v8
	v_or_b32_e32 v4, v14, v4
	v_cndmask_b32_e32 v9, v11, v9, vcc_lo
	v_cmp_gt_i32_e32 vcc_lo, 1, v10
	v_and_b32_e32 v11, 7, v9
	v_cndmask_b32_e32 v4, v12, v4, vcc_lo
	v_cmp_ne_u32_e32 vcc_lo, 0, v2
	v_lshrrev_b32_e32 v9, 2, v9
	v_cmp_eq_u32_e64 s0, 3, v11
	v_and_b32_e32 v12, 7, v4
	v_cndmask_b32_e64 v2, 0, 1, vcc_lo
	v_cmp_ne_u32_e32 vcc_lo, 0, v6
	v_lshrrev_b32_e32 v4, 2, v4
	v_cmp_lt_i32_e64 s1, 5, v12
	v_cmp_eq_u32_e64 s2, 3, v12
	v_cndmask_b32_e64 v6, 0, 1, vcc_lo
	v_cmp_lt_i32_e32 vcc_lo, 5, v11
	v_lshl_or_b32 v2, v2, 9, 0x7c00
	v_lshl_or_b32 v6, v6, 9, 0x7c00
	s_or_b32 vcc_lo, s0, vcc_lo
	s_mul_i32 s0, s5, 0x12c
	v_add_co_ci_u32_e32 v9, vcc_lo, 0, v9, vcc_lo
	s_or_b32 vcc_lo, s2, s1
	s_add_i32 s3, s3, s0
	v_add_co_ci_u32_e32 v4, vcc_lo, 0, v4, vcc_lo
	v_cmp_gt_i32_e32 vcc_lo, 31, v8
	v_cndmask_b32_e32 v9, 0x7c00, v9, vcc_lo
	v_cmp_gt_i32_e32 vcc_lo, 31, v10
	v_cndmask_b32_e32 v4, 0x7c00, v4, vcc_lo
	v_cmp_eq_u32_e32 vcc_lo, 0x40f, v8
	v_cndmask_b32_e32 v2, v9, v2, vcc_lo
	v_cmp_eq_u32_e32 vcc_lo, 0x40f, v10
	v_and_or_b32 v2, 0x8000, v5, v2
	v_cndmask_b32_e32 v4, v4, v6, vcc_lo
	v_add_co_u32 v0, vcc_lo, v0, s4
	v_add_co_ci_u32_e32 v1, vcc_lo, s3, v1, vcc_lo
	v_and_or_b32 v4, 0x8000, v7, v4
	v_and_b32_e32 v2, 0xffff, v2
	v_lshl_or_b32 v2, v4, 16, v2
	v_lshrrev_b32_e32 v4, 16, v3
	global_store_dword v[0:1], v2, off
	global_load_dword v2, v51, s[12:13] offset:600
	s_waitcnt vmcnt(0)
	v_mul_f16_sdwa v5, v4, v2 dst_sel:DWORD dst_unused:UNUSED_PAD src0_sel:DWORD src1_sel:WORD_1
	v_mul_f16_sdwa v6, v3, v2 dst_sel:DWORD dst_unused:UNUSED_PAD src0_sel:DWORD src1_sel:WORD_1
	v_fmac_f16_e32 v5, v3, v2
	v_fma_f16 v2, v2, v4, -v6
	v_cvt_f32_f16_e32 v3, v5
	v_cvt_f32_f16_e32 v4, v2
	v_cvt_f64_f32_e32 v[2:3], v3
	v_cvt_f64_f32_e32 v[4:5], v4
	v_mul_f64 v[2:3], v[2:3], s[8:9]
	v_mul_f64 v[4:5], v[4:5], s[8:9]
	v_and_or_b32 v2, 0x1ff, v3, v2
	v_and_or_b32 v4, 0x1ff, v5, v4
	v_lshrrev_b32_e32 v6, 8, v3
	v_bfe_u32 v7, v3, 20, 11
	v_lshrrev_b32_e32 v8, 8, v5
	v_cmp_ne_u32_e32 vcc_lo, 0, v2
	v_bfe_u32 v9, v5, 20, 11
	v_lshrrev_b32_e32 v3, 16, v3
	v_sub_nc_u32_e32 v10, 0x3f1, v7
	v_add_nc_u32_e32 v7, 0xfffffc10, v7
	v_cndmask_b32_e64 v2, 0, 1, vcc_lo
	v_cmp_ne_u32_e32 vcc_lo, 0, v4
	v_lshrrev_b32_e32 v5, 16, v5
	v_and_or_b32 v2, 0xffe, v6, v2
	v_cndmask_b32_e64 v4, 0, 1, vcc_lo
	v_sub_nc_u32_e32 v6, 0x3f1, v9
	v_add_nc_u32_e32 v9, 0xfffffc10, v9
	v_and_or_b32 v4, 0xffe, v8, v4
	v_med3_i32 v8, v10, 0, 13
	v_or_b32_e32 v10, 0x1000, v2
	v_med3_i32 v6, v6, 0, 13
	v_or_b32_e32 v11, 0x1000, v4
	v_lshrrev_b32_e32 v12, v8, v10
	v_lshrrev_b32_e32 v13, v6, v11
	v_lshlrev_b32_e32 v8, v8, v12
	v_lshlrev_b32_e32 v6, v6, v13
	v_cmp_ne_u32_e32 vcc_lo, v8, v10
	v_lshl_or_b32 v10, v7, 12, v2
	v_cndmask_b32_e64 v8, 0, 1, vcc_lo
	v_cmp_ne_u32_e32 vcc_lo, v6, v11
	v_lshl_or_b32 v11, v9, 12, v4
	v_or_b32_e32 v8, v12, v8
	v_cndmask_b32_e64 v6, 0, 1, vcc_lo
	v_cmp_gt_i32_e32 vcc_lo, 1, v7
	v_or_b32_e32 v6, v13, v6
	v_cndmask_b32_e32 v8, v10, v8, vcc_lo
	v_cmp_gt_i32_e32 vcc_lo, 1, v9
	v_and_b32_e32 v10, 7, v8
	v_cndmask_b32_e32 v6, v11, v6, vcc_lo
	v_cmp_ne_u32_e32 vcc_lo, 0, v2
	v_lshrrev_b32_e32 v8, 2, v8
	v_cmp_eq_u32_e64 s0, 3, v10
	v_and_b32_e32 v11, 7, v6
	v_cndmask_b32_e64 v2, 0, 1, vcc_lo
	v_cmp_ne_u32_e32 vcc_lo, 0, v4
	v_lshrrev_b32_e32 v6, 2, v6
	v_cmp_lt_i32_e64 s1, 5, v11
	v_cmp_eq_u32_e64 s2, 3, v11
	v_cndmask_b32_e64 v4, 0, 1, vcc_lo
	v_cmp_lt_i32_e32 vcc_lo, 5, v10
	v_lshl_or_b32 v2, v2, 9, 0x7c00
	v_lshl_or_b32 v4, v4, 9, 0x7c00
	s_or_b32 vcc_lo, s0, vcc_lo
	v_add_co_ci_u32_e32 v8, vcc_lo, 0, v8, vcc_lo
	s_or_b32 vcc_lo, s2, s1
	v_add_co_ci_u32_e32 v6, vcc_lo, 0, v6, vcc_lo
	v_cmp_gt_i32_e32 vcc_lo, 31, v7
	v_cndmask_b32_e32 v8, 0x7c00, v8, vcc_lo
	v_cmp_gt_i32_e32 vcc_lo, 31, v9
	v_cndmask_b32_e32 v6, 0x7c00, v6, vcc_lo
	v_cmp_eq_u32_e32 vcc_lo, 0x40f, v7
	v_cndmask_b32_e32 v2, v8, v2, vcc_lo
	v_cmp_eq_u32_e32 vcc_lo, 0x40f, v9
	v_and_or_b32 v2, 0x8000, v3, v2
	v_cndmask_b32_e32 v4, v6, v4, vcc_lo
	v_add_co_u32 v0, vcc_lo, v0, s4
	v_add_co_ci_u32_e32 v1, vcc_lo, s3, v1, vcc_lo
	v_and_or_b32 v3, 0x8000, v5, v4
	v_and_b32_e32 v2, 0xffff, v2
	v_lshl_or_b32 v2, v3, 16, v2
	global_store_dword v[0:1], v2, off
	global_load_dword v4, v51, s[12:13] offset:900
	v_add_nc_u32_e32 v2, 0x200, v53
	ds_read2_b32 v[2:3], v2 offset0:97 offset1:172
	s_waitcnt lgkmcnt(0)
	v_lshrrev_b32_e32 v5, 16, v2
	s_waitcnt vmcnt(0)
	v_mul_f16_sdwa v6, v5, v4 dst_sel:DWORD dst_unused:UNUSED_PAD src0_sel:DWORD src1_sel:WORD_1
	v_mul_f16_sdwa v7, v2, v4 dst_sel:DWORD dst_unused:UNUSED_PAD src0_sel:DWORD src1_sel:WORD_1
	v_fmac_f16_e32 v6, v2, v4
	v_fma_f16 v2, v4, v5, -v7
	v_cvt_f32_f16_e32 v4, v6
	v_cvt_f32_f16_e32 v2, v2
	v_cvt_f64_f32_e32 v[4:5], v4
	v_cvt_f64_f32_e32 v[6:7], v2
	v_mul_f64 v[4:5], v[4:5], s[8:9]
	v_mul_f64 v[6:7], v[6:7], s[8:9]
	v_and_or_b32 v2, 0x1ff, v5, v4
	v_and_or_b32 v6, 0x1ff, v7, v6
	v_lshrrev_b32_e32 v4, 8, v5
	v_bfe_u32 v8, v5, 20, 11
	v_lshrrev_b32_e32 v9, 8, v7
	v_cmp_ne_u32_e32 vcc_lo, 0, v2
	v_bfe_u32 v10, v7, 20, 11
	v_lshrrev_b32_e32 v5, 16, v5
	v_sub_nc_u32_e32 v11, 0x3f1, v8
	v_add_nc_u32_e32 v8, 0xfffffc10, v8
	v_cndmask_b32_e64 v2, 0, 1, vcc_lo
	v_cmp_ne_u32_e32 vcc_lo, 0, v6
	v_lshrrev_b32_e32 v7, 16, v7
	v_and_or_b32 v2, 0xffe, v4, v2
	v_cndmask_b32_e64 v6, 0, 1, vcc_lo
	v_sub_nc_u32_e32 v4, 0x3f1, v10
	v_add_nc_u32_e32 v10, 0xfffffc10, v10
	v_and_or_b32 v6, 0xffe, v9, v6
	v_med3_i32 v9, v11, 0, 13
	v_or_b32_e32 v11, 0x1000, v2
	v_med3_i32 v4, v4, 0, 13
	v_or_b32_e32 v12, 0x1000, v6
	v_lshrrev_b32_e32 v13, v9, v11
	v_lshrrev_b32_e32 v14, v4, v12
	v_lshlrev_b32_e32 v9, v9, v13
	v_lshlrev_b32_e32 v4, v4, v14
	v_cmp_ne_u32_e32 vcc_lo, v9, v11
	v_lshl_or_b32 v11, v8, 12, v2
	v_cndmask_b32_e64 v9, 0, 1, vcc_lo
	v_cmp_ne_u32_e32 vcc_lo, v4, v12
	v_lshl_or_b32 v12, v10, 12, v6
	v_or_b32_e32 v9, v13, v9
	v_cndmask_b32_e64 v4, 0, 1, vcc_lo
	v_cmp_gt_i32_e32 vcc_lo, 1, v8
	v_or_b32_e32 v4, v14, v4
	v_cndmask_b32_e32 v9, v11, v9, vcc_lo
	v_cmp_gt_i32_e32 vcc_lo, 1, v10
	v_and_b32_e32 v11, 7, v9
	v_cndmask_b32_e32 v4, v12, v4, vcc_lo
	v_cmp_ne_u32_e32 vcc_lo, 0, v2
	v_lshrrev_b32_e32 v9, 2, v9
	v_cmp_eq_u32_e64 s0, 3, v11
	v_and_b32_e32 v12, 7, v4
	v_cndmask_b32_e64 v2, 0, 1, vcc_lo
	v_cmp_ne_u32_e32 vcc_lo, 0, v6
	v_lshrrev_b32_e32 v4, 2, v4
	v_cmp_lt_i32_e64 s1, 5, v12
	v_cmp_eq_u32_e64 s2, 3, v12
	v_cndmask_b32_e64 v6, 0, 1, vcc_lo
	v_cmp_lt_i32_e32 vcc_lo, 5, v11
	v_lshl_or_b32 v2, v2, 9, 0x7c00
	v_lshl_or_b32 v6, v6, 9, 0x7c00
	s_or_b32 vcc_lo, s0, vcc_lo
	v_add_co_ci_u32_e32 v9, vcc_lo, 0, v9, vcc_lo
	s_or_b32 vcc_lo, s2, s1
	v_add_co_ci_u32_e32 v4, vcc_lo, 0, v4, vcc_lo
	v_cmp_gt_i32_e32 vcc_lo, 31, v8
	v_cndmask_b32_e32 v9, 0x7c00, v9, vcc_lo
	v_cmp_gt_i32_e32 vcc_lo, 31, v10
	v_cndmask_b32_e32 v4, 0x7c00, v4, vcc_lo
	v_cmp_eq_u32_e32 vcc_lo, 0x40f, v8
	v_cndmask_b32_e32 v2, v9, v2, vcc_lo
	v_cmp_eq_u32_e32 vcc_lo, 0x40f, v10
	v_and_or_b32 v2, 0x8000, v5, v2
	v_cndmask_b32_e32 v4, v4, v6, vcc_lo
	v_add_co_u32 v0, vcc_lo, v0, s4
	v_add_co_ci_u32_e32 v1, vcc_lo, s3, v1, vcc_lo
	v_and_or_b32 v4, 0x8000, v7, v4
	v_and_b32_e32 v2, 0xffff, v2
	v_lshl_or_b32 v2, v4, 16, v2
	v_lshrrev_b32_e32 v4, 16, v3
	global_store_dword v[0:1], v2, off
	global_load_dword v2, v51, s[12:13] offset:1200
	s_waitcnt vmcnt(0)
	v_mul_f16_sdwa v5, v4, v2 dst_sel:DWORD dst_unused:UNUSED_PAD src0_sel:DWORD src1_sel:WORD_1
	v_mul_f16_sdwa v6, v3, v2 dst_sel:DWORD dst_unused:UNUSED_PAD src0_sel:DWORD src1_sel:WORD_1
	v_fmac_f16_e32 v5, v3, v2
	v_fma_f16 v2, v2, v4, -v6
	v_cvt_f32_f16_e32 v3, v5
	v_cvt_f32_f16_e32 v4, v2
	v_cvt_f64_f32_e32 v[2:3], v3
	v_cvt_f64_f32_e32 v[4:5], v4
	v_mul_f64 v[2:3], v[2:3], s[8:9]
	v_mul_f64 v[4:5], v[4:5], s[8:9]
	v_and_or_b32 v2, 0x1ff, v3, v2
	v_and_or_b32 v4, 0x1ff, v5, v4
	v_lshrrev_b32_e32 v6, 8, v3
	v_bfe_u32 v7, v3, 20, 11
	v_lshrrev_b32_e32 v8, 8, v5
	v_cmp_ne_u32_e32 vcc_lo, 0, v2
	v_bfe_u32 v9, v5, 20, 11
	v_lshrrev_b32_e32 v3, 16, v3
	v_sub_nc_u32_e32 v10, 0x3f1, v7
	v_add_nc_u32_e32 v7, 0xfffffc10, v7
	v_cndmask_b32_e64 v2, 0, 1, vcc_lo
	v_cmp_ne_u32_e32 vcc_lo, 0, v4
	v_lshrrev_b32_e32 v5, 16, v5
	v_and_or_b32 v2, 0xffe, v6, v2
	v_cndmask_b32_e64 v4, 0, 1, vcc_lo
	v_sub_nc_u32_e32 v6, 0x3f1, v9
	v_add_nc_u32_e32 v9, 0xfffffc10, v9
	v_and_or_b32 v4, 0xffe, v8, v4
	v_med3_i32 v8, v10, 0, 13
	v_or_b32_e32 v10, 0x1000, v2
	v_med3_i32 v6, v6, 0, 13
	v_or_b32_e32 v11, 0x1000, v4
	v_lshrrev_b32_e32 v12, v8, v10
	v_lshrrev_b32_e32 v13, v6, v11
	v_lshlrev_b32_e32 v8, v8, v12
	v_lshlrev_b32_e32 v6, v6, v13
	v_cmp_ne_u32_e32 vcc_lo, v8, v10
	v_lshl_or_b32 v10, v7, 12, v2
	v_cndmask_b32_e64 v8, 0, 1, vcc_lo
	v_cmp_ne_u32_e32 vcc_lo, v6, v11
	v_lshl_or_b32 v11, v9, 12, v4
	v_or_b32_e32 v8, v12, v8
	v_cndmask_b32_e64 v6, 0, 1, vcc_lo
	v_cmp_gt_i32_e32 vcc_lo, 1, v7
	v_or_b32_e32 v6, v13, v6
	v_cndmask_b32_e32 v8, v10, v8, vcc_lo
	v_cmp_gt_i32_e32 vcc_lo, 1, v9
	v_and_b32_e32 v10, 7, v8
	v_cndmask_b32_e32 v6, v11, v6, vcc_lo
	v_cmp_ne_u32_e32 vcc_lo, 0, v2
	v_lshrrev_b32_e32 v8, 2, v8
	v_cmp_eq_u32_e64 s0, 3, v10
	v_and_b32_e32 v11, 7, v6
	v_cndmask_b32_e64 v2, 0, 1, vcc_lo
	v_cmp_ne_u32_e32 vcc_lo, 0, v4
	v_lshrrev_b32_e32 v6, 2, v6
	v_cmp_lt_i32_e64 s1, 5, v11
	v_cmp_eq_u32_e64 s2, 3, v11
	v_cndmask_b32_e64 v4, 0, 1, vcc_lo
	v_cmp_lt_i32_e32 vcc_lo, 5, v10
	v_lshl_or_b32 v2, v2, 9, 0x7c00
	v_lshl_or_b32 v4, v4, 9, 0x7c00
	s_or_b32 vcc_lo, s0, vcc_lo
	v_add_co_ci_u32_e32 v8, vcc_lo, 0, v8, vcc_lo
	s_or_b32 vcc_lo, s2, s1
	v_add_co_ci_u32_e32 v6, vcc_lo, 0, v6, vcc_lo
	v_cmp_gt_i32_e32 vcc_lo, 31, v7
	v_cndmask_b32_e32 v8, 0x7c00, v8, vcc_lo
	v_cmp_gt_i32_e32 vcc_lo, 31, v9
	v_cndmask_b32_e32 v6, 0x7c00, v6, vcc_lo
	v_cmp_eq_u32_e32 vcc_lo, 0x40f, v7
	v_cndmask_b32_e32 v2, v8, v2, vcc_lo
	v_cmp_eq_u32_e32 vcc_lo, 0x40f, v9
	v_and_or_b32 v2, 0x8000, v3, v2
	v_cndmask_b32_e32 v4, v6, v4, vcc_lo
	v_add_co_u32 v0, vcc_lo, v0, s4
	v_add_co_ci_u32_e32 v1, vcc_lo, s3, v1, vcc_lo
	v_and_or_b32 v3, 0x8000, v5, v4
	v_and_b32_e32 v2, 0xffff, v2
	v_lshl_or_b32 v2, v3, 16, v2
	global_store_dword v[0:1], v2, off
	global_load_dword v4, v51, s[12:13] offset:1500
	v_add_nc_u32_e32 v2, 0x400, v53
	ds_read2_b32 v[2:3], v2 offset0:119 offset1:194
	s_waitcnt lgkmcnt(0)
	v_lshrrev_b32_e32 v5, 16, v2
	s_waitcnt vmcnt(0)
	v_mul_f16_sdwa v6, v5, v4 dst_sel:DWORD dst_unused:UNUSED_PAD src0_sel:DWORD src1_sel:WORD_1
	v_mul_f16_sdwa v7, v2, v4 dst_sel:DWORD dst_unused:UNUSED_PAD src0_sel:DWORD src1_sel:WORD_1
	v_fmac_f16_e32 v6, v2, v4
	v_fma_f16 v2, v4, v5, -v7
	v_cvt_f32_f16_e32 v4, v6
	v_cvt_f32_f16_e32 v2, v2
	v_cvt_f64_f32_e32 v[4:5], v4
	v_cvt_f64_f32_e32 v[6:7], v2
	v_mul_f64 v[4:5], v[4:5], s[8:9]
	v_mul_f64 v[6:7], v[6:7], s[8:9]
	v_and_or_b32 v2, 0x1ff, v5, v4
	v_and_or_b32 v6, 0x1ff, v7, v6
	v_lshrrev_b32_e32 v4, 8, v5
	v_bfe_u32 v8, v5, 20, 11
	v_lshrrev_b32_e32 v9, 8, v7
	v_cmp_ne_u32_e32 vcc_lo, 0, v2
	v_bfe_u32 v10, v7, 20, 11
	v_lshrrev_b32_e32 v5, 16, v5
	v_sub_nc_u32_e32 v11, 0x3f1, v8
	v_add_nc_u32_e32 v8, 0xfffffc10, v8
	v_cndmask_b32_e64 v2, 0, 1, vcc_lo
	v_cmp_ne_u32_e32 vcc_lo, 0, v6
	v_lshrrev_b32_e32 v7, 16, v7
	v_and_or_b32 v2, 0xffe, v4, v2
	v_cndmask_b32_e64 v6, 0, 1, vcc_lo
	v_sub_nc_u32_e32 v4, 0x3f1, v10
	v_add_nc_u32_e32 v10, 0xfffffc10, v10
	v_and_or_b32 v6, 0xffe, v9, v6
	v_med3_i32 v9, v11, 0, 13
	v_or_b32_e32 v11, 0x1000, v2
	v_med3_i32 v4, v4, 0, 13
	v_or_b32_e32 v12, 0x1000, v6
	v_lshrrev_b32_e32 v13, v9, v11
	v_lshrrev_b32_e32 v14, v4, v12
	v_lshlrev_b32_e32 v9, v9, v13
	v_lshlrev_b32_e32 v4, v4, v14
	v_cmp_ne_u32_e32 vcc_lo, v9, v11
	v_lshl_or_b32 v11, v8, 12, v2
	v_cndmask_b32_e64 v9, 0, 1, vcc_lo
	v_cmp_ne_u32_e32 vcc_lo, v4, v12
	v_lshl_or_b32 v12, v10, 12, v6
	v_or_b32_e32 v9, v13, v9
	v_cndmask_b32_e64 v4, 0, 1, vcc_lo
	v_cmp_gt_i32_e32 vcc_lo, 1, v8
	v_or_b32_e32 v4, v14, v4
	v_cndmask_b32_e32 v9, v11, v9, vcc_lo
	v_cmp_gt_i32_e32 vcc_lo, 1, v10
	v_and_b32_e32 v11, 7, v9
	v_cndmask_b32_e32 v4, v12, v4, vcc_lo
	v_cmp_ne_u32_e32 vcc_lo, 0, v2
	v_lshrrev_b32_e32 v9, 2, v9
	v_cmp_eq_u32_e64 s0, 3, v11
	v_and_b32_e32 v12, 7, v4
	v_cndmask_b32_e64 v2, 0, 1, vcc_lo
	v_cmp_ne_u32_e32 vcc_lo, 0, v6
	v_lshrrev_b32_e32 v4, 2, v4
	v_cmp_lt_i32_e64 s1, 5, v12
	v_cmp_eq_u32_e64 s2, 3, v12
	v_cndmask_b32_e64 v6, 0, 1, vcc_lo
	v_cmp_lt_i32_e32 vcc_lo, 5, v11
	v_lshl_or_b32 v2, v2, 9, 0x7c00
	v_lshl_or_b32 v6, v6, 9, 0x7c00
	s_or_b32 vcc_lo, s0, vcc_lo
	v_add_co_ci_u32_e32 v9, vcc_lo, 0, v9, vcc_lo
	s_or_b32 vcc_lo, s2, s1
	v_add_co_ci_u32_e32 v4, vcc_lo, 0, v4, vcc_lo
	v_cmp_gt_i32_e32 vcc_lo, 31, v8
	v_cndmask_b32_e32 v9, 0x7c00, v9, vcc_lo
	v_cmp_gt_i32_e32 vcc_lo, 31, v10
	v_cndmask_b32_e32 v4, 0x7c00, v4, vcc_lo
	v_cmp_eq_u32_e32 vcc_lo, 0x40f, v8
	v_cndmask_b32_e32 v2, v9, v2, vcc_lo
	v_cmp_eq_u32_e32 vcc_lo, 0x40f, v10
	v_and_or_b32 v2, 0x8000, v5, v2
	v_cndmask_b32_e32 v4, v4, v6, vcc_lo
	v_add_co_u32 v0, vcc_lo, v0, s4
	v_add_co_ci_u32_e32 v1, vcc_lo, s3, v1, vcc_lo
	v_and_or_b32 v4, 0x8000, v7, v4
	v_and_b32_e32 v2, 0xffff, v2
	v_lshl_or_b32 v2, v4, 16, v2
	v_lshrrev_b32_e32 v4, 16, v3
	global_store_dword v[0:1], v2, off
	global_load_dword v2, v51, s[12:13] offset:1800
	s_waitcnt vmcnt(0)
	v_mul_f16_sdwa v5, v4, v2 dst_sel:DWORD dst_unused:UNUSED_PAD src0_sel:DWORD src1_sel:WORD_1
	v_mul_f16_sdwa v6, v3, v2 dst_sel:DWORD dst_unused:UNUSED_PAD src0_sel:DWORD src1_sel:WORD_1
	v_fmac_f16_e32 v5, v3, v2
	v_fma_f16 v2, v2, v4, -v6
	v_cvt_f32_f16_e32 v3, v5
	v_cvt_f32_f16_e32 v4, v2
	v_cvt_f64_f32_e32 v[2:3], v3
	v_cvt_f64_f32_e32 v[4:5], v4
	v_mul_f64 v[2:3], v[2:3], s[8:9]
	v_mul_f64 v[4:5], v[4:5], s[8:9]
	v_and_or_b32 v2, 0x1ff, v3, v2
	v_and_or_b32 v4, 0x1ff, v5, v4
	v_lshrrev_b32_e32 v6, 8, v3
	v_bfe_u32 v7, v3, 20, 11
	v_lshrrev_b32_e32 v8, 8, v5
	v_cmp_ne_u32_e32 vcc_lo, 0, v2
	v_bfe_u32 v9, v5, 20, 11
	v_lshrrev_b32_e32 v3, 16, v3
	v_sub_nc_u32_e32 v10, 0x3f1, v7
	v_add_nc_u32_e32 v7, 0xfffffc10, v7
	v_cndmask_b32_e64 v2, 0, 1, vcc_lo
	v_cmp_ne_u32_e32 vcc_lo, 0, v4
	v_lshrrev_b32_e32 v5, 16, v5
	v_and_or_b32 v2, 0xffe, v6, v2
	v_cndmask_b32_e64 v4, 0, 1, vcc_lo
	v_sub_nc_u32_e32 v6, 0x3f1, v9
	v_add_nc_u32_e32 v9, 0xfffffc10, v9
	v_and_or_b32 v4, 0xffe, v8, v4
	v_med3_i32 v8, v10, 0, 13
	v_or_b32_e32 v10, 0x1000, v2
	v_med3_i32 v6, v6, 0, 13
	v_or_b32_e32 v11, 0x1000, v4
	v_lshrrev_b32_e32 v12, v8, v10
	v_lshrrev_b32_e32 v13, v6, v11
	v_lshlrev_b32_e32 v8, v8, v12
	v_lshlrev_b32_e32 v6, v6, v13
	v_cmp_ne_u32_e32 vcc_lo, v8, v10
	v_lshl_or_b32 v10, v7, 12, v2
	v_cndmask_b32_e64 v8, 0, 1, vcc_lo
	v_cmp_ne_u32_e32 vcc_lo, v6, v11
	v_lshl_or_b32 v11, v9, 12, v4
	v_or_b32_e32 v8, v12, v8
	v_cndmask_b32_e64 v6, 0, 1, vcc_lo
	v_cmp_gt_i32_e32 vcc_lo, 1, v7
	v_add_nc_u32_e32 v12, 0x800, v53
	v_or_b32_e32 v6, v13, v6
	v_cndmask_b32_e32 v8, v10, v8, vcc_lo
	v_cmp_gt_i32_e32 vcc_lo, 1, v9
	v_and_b32_e32 v10, 7, v8
	v_cndmask_b32_e32 v6, v11, v6, vcc_lo
	v_cmp_ne_u32_e32 vcc_lo, 0, v2
	v_lshrrev_b32_e32 v8, 2, v8
	v_cmp_eq_u32_e64 s0, 3, v10
	v_and_b32_e32 v11, 7, v6
	v_cndmask_b32_e64 v2, 0, 1, vcc_lo
	v_cmp_ne_u32_e32 vcc_lo, 0, v4
	v_lshrrev_b32_e32 v6, 2, v6
	v_cmp_lt_i32_e64 s1, 5, v11
	v_cmp_eq_u32_e64 s2, 3, v11
	v_cndmask_b32_e64 v4, 0, 1, vcc_lo
	v_cmp_lt_i32_e32 vcc_lo, 5, v10
	v_lshl_or_b32 v2, v2, 9, 0x7c00
	v_lshl_or_b32 v4, v4, 9, 0x7c00
	s_or_b32 vcc_lo, s0, vcc_lo
	v_add_co_ci_u32_e32 v8, vcc_lo, 0, v8, vcc_lo
	s_or_b32 vcc_lo, s2, s1
	v_add_co_ci_u32_e32 v6, vcc_lo, 0, v6, vcc_lo
	v_cmp_gt_i32_e32 vcc_lo, 31, v7
	v_cndmask_b32_e32 v8, 0x7c00, v8, vcc_lo
	v_cmp_gt_i32_e32 vcc_lo, 31, v9
	v_cndmask_b32_e32 v6, 0x7c00, v6, vcc_lo
	v_cmp_eq_u32_e32 vcc_lo, 0x40f, v7
	v_cndmask_b32_e32 v2, v8, v2, vcc_lo
	v_cmp_eq_u32_e32 vcc_lo, 0x40f, v9
	v_cndmask_b32_e32 v4, v6, v4, vcc_lo
	v_and_or_b32 v6, 0x8000, v3, v2
	v_add_co_u32 v2, s0, s12, v51
	v_add_co_ci_u32_e64 v3, null, s13, 0, s0
	v_and_or_b32 v7, 0x8000, v5, v4
	v_and_b32_e32 v6, 0xffff, v6
	v_add_co_u32 v4, vcc_lo, v0, s4
	v_add_co_ci_u32_e32 v5, vcc_lo, s3, v1, vcc_lo
	v_add_co_u32 v0, vcc_lo, 0x800, v2
	v_lshl_or_b32 v6, v7, 16, v6
	v_add_co_ci_u32_e32 v1, vcc_lo, 0, v3, vcc_lo
	global_store_dword v[4:5], v6, off
	global_load_dword v8, v[0:1], off offset:52
	ds_read2_b32 v[6:7], v12 offset0:13 offset1:88
	s_waitcnt lgkmcnt(0)
	v_lshrrev_b32_e32 v9, 16, v6
	s_waitcnt vmcnt(0)
	v_mul_f16_sdwa v10, v9, v8 dst_sel:DWORD dst_unused:UNUSED_PAD src0_sel:DWORD src1_sel:WORD_1
	v_mul_f16_sdwa v11, v6, v8 dst_sel:DWORD dst_unused:UNUSED_PAD src0_sel:DWORD src1_sel:WORD_1
	v_fmac_f16_e32 v10, v6, v8
	v_fma_f16 v6, v8, v9, -v11
	v_cvt_f32_f16_e32 v8, v10
	v_cvt_f32_f16_e32 v6, v6
	v_cvt_f64_f32_e32 v[8:9], v8
	v_cvt_f64_f32_e32 v[10:11], v6
	v_mul_f64 v[8:9], v[8:9], s[8:9]
	v_mul_f64 v[10:11], v[10:11], s[8:9]
	v_and_or_b32 v6, 0x1ff, v9, v8
	v_and_or_b32 v10, 0x1ff, v11, v10
	v_lshrrev_b32_e32 v8, 8, v9
	v_bfe_u32 v13, v9, 20, 11
	v_lshrrev_b32_e32 v14, 8, v11
	v_cmp_ne_u32_e32 vcc_lo, 0, v6
	v_bfe_u32 v15, v11, 20, 11
	v_lshrrev_b32_e32 v9, 16, v9
	v_sub_nc_u32_e32 v16, 0x3f1, v13
	v_add_nc_u32_e32 v13, 0xfffffc10, v13
	v_cndmask_b32_e64 v6, 0, 1, vcc_lo
	v_cmp_ne_u32_e32 vcc_lo, 0, v10
	v_lshrrev_b32_e32 v11, 16, v11
	v_and_or_b32 v6, 0xffe, v8, v6
	v_cndmask_b32_e64 v10, 0, 1, vcc_lo
	v_sub_nc_u32_e32 v8, 0x3f1, v15
	v_add_nc_u32_e32 v15, 0xfffffc10, v15
	v_and_or_b32 v10, 0xffe, v14, v10
	v_med3_i32 v14, v16, 0, 13
	v_or_b32_e32 v16, 0x1000, v6
	v_med3_i32 v8, v8, 0, 13
	v_or_b32_e32 v17, 0x1000, v10
	v_lshrrev_b32_e32 v18, v14, v16
	v_lshrrev_b32_e32 v19, v8, v17
	v_lshlrev_b32_e32 v14, v14, v18
	v_lshlrev_b32_e32 v8, v8, v19
	v_cmp_ne_u32_e32 vcc_lo, v14, v16
	v_lshl_or_b32 v16, v13, 12, v6
	v_cndmask_b32_e64 v14, 0, 1, vcc_lo
	v_cmp_ne_u32_e32 vcc_lo, v8, v17
	v_lshl_or_b32 v17, v15, 12, v10
	v_or_b32_e32 v14, v18, v14
	v_cndmask_b32_e64 v8, 0, 1, vcc_lo
	v_cmp_gt_i32_e32 vcc_lo, 1, v13
	v_or_b32_e32 v8, v19, v8
	v_cndmask_b32_e32 v14, v16, v14, vcc_lo
	v_cmp_gt_i32_e32 vcc_lo, 1, v15
	v_and_b32_e32 v16, 7, v14
	v_cndmask_b32_e32 v8, v17, v8, vcc_lo
	v_cmp_ne_u32_e32 vcc_lo, 0, v6
	v_lshrrev_b32_e32 v14, 2, v14
	v_cmp_eq_u32_e64 s0, 3, v16
	v_and_b32_e32 v17, 7, v8
	v_cndmask_b32_e64 v6, 0, 1, vcc_lo
	v_cmp_ne_u32_e32 vcc_lo, 0, v10
	v_lshrrev_b32_e32 v8, 2, v8
	v_cmp_lt_i32_e64 s1, 5, v17
	v_cmp_eq_u32_e64 s2, 3, v17
	v_cndmask_b32_e64 v10, 0, 1, vcc_lo
	v_cmp_lt_i32_e32 vcc_lo, 5, v16
	v_lshl_or_b32 v6, v6, 9, 0x7c00
	v_lshl_or_b32 v10, v10, 9, 0x7c00
	s_or_b32 vcc_lo, s0, vcc_lo
	v_add_co_ci_u32_e32 v14, vcc_lo, 0, v14, vcc_lo
	s_or_b32 vcc_lo, s2, s1
	v_add_co_ci_u32_e32 v8, vcc_lo, 0, v8, vcc_lo
	v_cmp_gt_i32_e32 vcc_lo, 31, v13
	v_cndmask_b32_e32 v14, 0x7c00, v14, vcc_lo
	v_cmp_gt_i32_e32 vcc_lo, 31, v15
	v_cndmask_b32_e32 v8, 0x7c00, v8, vcc_lo
	v_cmp_eq_u32_e32 vcc_lo, 0x40f, v13
	v_cndmask_b32_e32 v6, v14, v6, vcc_lo
	v_cmp_eq_u32_e32 vcc_lo, 0x40f, v15
	v_and_or_b32 v6, 0x8000, v9, v6
	v_cndmask_b32_e32 v8, v8, v10, vcc_lo
	v_add_co_u32 v4, vcc_lo, v4, s4
	v_add_co_ci_u32_e32 v5, vcc_lo, s3, v5, vcc_lo
	v_and_or_b32 v8, 0x8000, v11, v8
	v_and_b32_e32 v6, 0xffff, v6
	v_lshl_or_b32 v6, v8, 16, v6
	v_lshrrev_b32_e32 v8, 16, v7
	global_store_dword v[4:5], v6, off
	global_load_dword v6, v[0:1], off offset:352
	s_waitcnt vmcnt(0)
	v_mul_f16_sdwa v9, v8, v6 dst_sel:DWORD dst_unused:UNUSED_PAD src0_sel:DWORD src1_sel:WORD_1
	v_mul_f16_sdwa v10, v7, v6 dst_sel:DWORD dst_unused:UNUSED_PAD src0_sel:DWORD src1_sel:WORD_1
	v_fmac_f16_e32 v9, v7, v6
	v_fma_f16 v6, v6, v8, -v10
	v_cvt_f32_f16_e32 v7, v9
	v_cvt_f32_f16_e32 v8, v6
	v_cvt_f64_f32_e32 v[6:7], v7
	v_cvt_f64_f32_e32 v[8:9], v8
	v_mul_f64 v[6:7], v[6:7], s[8:9]
	v_mul_f64 v[8:9], v[8:9], s[8:9]
	v_and_or_b32 v6, 0x1ff, v7, v6
	v_and_or_b32 v8, 0x1ff, v9, v8
	v_lshrrev_b32_e32 v10, 8, v7
	v_bfe_u32 v11, v7, 20, 11
	v_lshrrev_b32_e32 v13, 8, v9
	v_cmp_ne_u32_e32 vcc_lo, 0, v6
	v_bfe_u32 v14, v9, 20, 11
	v_lshrrev_b32_e32 v7, 16, v7
	v_sub_nc_u32_e32 v15, 0x3f1, v11
	v_add_nc_u32_e32 v11, 0xfffffc10, v11
	v_cndmask_b32_e64 v6, 0, 1, vcc_lo
	v_cmp_ne_u32_e32 vcc_lo, 0, v8
	v_lshrrev_b32_e32 v9, 16, v9
	v_and_or_b32 v6, 0xffe, v10, v6
	v_cndmask_b32_e64 v8, 0, 1, vcc_lo
	v_sub_nc_u32_e32 v10, 0x3f1, v14
	v_add_nc_u32_e32 v14, 0xfffffc10, v14
	v_and_or_b32 v8, 0xffe, v13, v8
	v_med3_i32 v13, v15, 0, 13
	v_or_b32_e32 v15, 0x1000, v6
	v_med3_i32 v10, v10, 0, 13
	v_or_b32_e32 v16, 0x1000, v8
	v_lshrrev_b32_e32 v17, v13, v15
	v_lshrrev_b32_e32 v18, v10, v16
	v_lshlrev_b32_e32 v13, v13, v17
	v_lshlrev_b32_e32 v10, v10, v18
	v_cmp_ne_u32_e32 vcc_lo, v13, v15
	v_lshl_or_b32 v15, v11, 12, v6
	v_cndmask_b32_e64 v13, 0, 1, vcc_lo
	v_cmp_ne_u32_e32 vcc_lo, v10, v16
	v_lshl_or_b32 v16, v14, 12, v8
	v_or_b32_e32 v13, v17, v13
	v_cndmask_b32_e64 v10, 0, 1, vcc_lo
	v_cmp_gt_i32_e32 vcc_lo, 1, v11
	v_or_b32_e32 v10, v18, v10
	v_cndmask_b32_e32 v13, v15, v13, vcc_lo
	v_cmp_gt_i32_e32 vcc_lo, 1, v14
	v_and_b32_e32 v15, 7, v13
	v_cndmask_b32_e32 v10, v16, v10, vcc_lo
	v_cmp_ne_u32_e32 vcc_lo, 0, v6
	v_lshrrev_b32_e32 v13, 2, v13
	v_cmp_eq_u32_e64 s0, 3, v15
	v_and_b32_e32 v16, 7, v10
	v_cndmask_b32_e64 v6, 0, 1, vcc_lo
	v_cmp_ne_u32_e32 vcc_lo, 0, v8
	v_lshrrev_b32_e32 v10, 2, v10
	v_cmp_lt_i32_e64 s1, 5, v16
	v_cmp_eq_u32_e64 s2, 3, v16
	v_cndmask_b32_e64 v8, 0, 1, vcc_lo
	v_cmp_lt_i32_e32 vcc_lo, 5, v15
	v_lshl_or_b32 v6, v6, 9, 0x7c00
	v_lshl_or_b32 v8, v8, 9, 0x7c00
	s_or_b32 vcc_lo, s0, vcc_lo
	v_add_co_ci_u32_e32 v13, vcc_lo, 0, v13, vcc_lo
	s_or_b32 vcc_lo, s2, s1
	v_add_co_ci_u32_e32 v10, vcc_lo, 0, v10, vcc_lo
	v_cmp_gt_i32_e32 vcc_lo, 31, v11
	v_cndmask_b32_e32 v13, 0x7c00, v13, vcc_lo
	v_cmp_gt_i32_e32 vcc_lo, 31, v14
	v_cndmask_b32_e32 v10, 0x7c00, v10, vcc_lo
	v_cmp_eq_u32_e32 vcc_lo, 0x40f, v11
	v_cndmask_b32_e32 v6, v13, v6, vcc_lo
	v_cmp_eq_u32_e32 vcc_lo, 0x40f, v14
	v_and_or_b32 v6, 0x8000, v7, v6
	v_cndmask_b32_e32 v8, v10, v8, vcc_lo
	v_add_co_u32 v4, vcc_lo, v4, s4
	v_add_co_ci_u32_e32 v5, vcc_lo, s3, v5, vcc_lo
	v_and_or_b32 v7, 0x8000, v9, v8
	v_and_b32_e32 v6, 0xffff, v6
	v_lshl_or_b32 v6, v7, 16, v6
	global_store_dword v[4:5], v6, off
	global_load_dword v8, v[0:1], off offset:652
	ds_read2_b32 v[6:7], v12 offset0:163 offset1:238
	s_waitcnt lgkmcnt(0)
	v_lshrrev_b32_e32 v9, 16, v6
	s_waitcnt vmcnt(0)
	v_mul_f16_sdwa v10, v9, v8 dst_sel:DWORD dst_unused:UNUSED_PAD src0_sel:DWORD src1_sel:WORD_1
	v_mul_f16_sdwa v11, v6, v8 dst_sel:DWORD dst_unused:UNUSED_PAD src0_sel:DWORD src1_sel:WORD_1
	v_fmac_f16_e32 v10, v6, v8
	v_fma_f16 v6, v8, v9, -v11
	v_cvt_f32_f16_e32 v8, v10
	v_cvt_f32_f16_e32 v6, v6
	v_cvt_f64_f32_e32 v[8:9], v8
	v_cvt_f64_f32_e32 v[10:11], v6
	v_mul_f64 v[8:9], v[8:9], s[8:9]
	v_mul_f64 v[10:11], v[10:11], s[8:9]
	v_and_or_b32 v6, 0x1ff, v9, v8
	v_and_or_b32 v10, 0x1ff, v11, v10
	v_lshrrev_b32_e32 v8, 8, v9
	v_bfe_u32 v12, v9, 20, 11
	v_lshrrev_b32_e32 v13, 8, v11
	v_cmp_ne_u32_e32 vcc_lo, 0, v6
	v_bfe_u32 v14, v11, 20, 11
	v_lshrrev_b32_e32 v9, 16, v9
	v_sub_nc_u32_e32 v15, 0x3f1, v12
	v_add_nc_u32_e32 v12, 0xfffffc10, v12
	v_cndmask_b32_e64 v6, 0, 1, vcc_lo
	v_cmp_ne_u32_e32 vcc_lo, 0, v10
	v_lshrrev_b32_e32 v11, 16, v11
	v_and_or_b32 v6, 0xffe, v8, v6
	v_cndmask_b32_e64 v10, 0, 1, vcc_lo
	v_sub_nc_u32_e32 v8, 0x3f1, v14
	v_add_nc_u32_e32 v14, 0xfffffc10, v14
	v_and_or_b32 v10, 0xffe, v13, v10
	v_med3_i32 v13, v15, 0, 13
	v_or_b32_e32 v15, 0x1000, v6
	v_med3_i32 v8, v8, 0, 13
	v_or_b32_e32 v16, 0x1000, v10
	v_lshrrev_b32_e32 v17, v13, v15
	v_lshrrev_b32_e32 v18, v8, v16
	v_lshlrev_b32_e32 v13, v13, v17
	v_lshlrev_b32_e32 v8, v8, v18
	v_cmp_ne_u32_e32 vcc_lo, v13, v15
	v_lshl_or_b32 v15, v12, 12, v6
	v_cndmask_b32_e64 v13, 0, 1, vcc_lo
	v_cmp_ne_u32_e32 vcc_lo, v8, v16
	v_lshl_or_b32 v16, v14, 12, v10
	v_or_b32_e32 v13, v17, v13
	v_cndmask_b32_e64 v8, 0, 1, vcc_lo
	v_cmp_gt_i32_e32 vcc_lo, 1, v12
	v_or_b32_e32 v8, v18, v8
	v_cndmask_b32_e32 v13, v15, v13, vcc_lo
	v_cmp_gt_i32_e32 vcc_lo, 1, v14
	v_and_b32_e32 v15, 7, v13
	v_cndmask_b32_e32 v8, v16, v8, vcc_lo
	v_cmp_ne_u32_e32 vcc_lo, 0, v6
	v_lshrrev_b32_e32 v13, 2, v13
	v_cmp_eq_u32_e64 s0, 3, v15
	v_and_b32_e32 v16, 7, v8
	v_cndmask_b32_e64 v6, 0, 1, vcc_lo
	v_cmp_ne_u32_e32 vcc_lo, 0, v10
	v_lshrrev_b32_e32 v8, 2, v8
	v_cmp_lt_i32_e64 s1, 5, v16
	v_cmp_eq_u32_e64 s2, 3, v16
	v_cndmask_b32_e64 v10, 0, 1, vcc_lo
	v_cmp_lt_i32_e32 vcc_lo, 5, v15
	v_lshl_or_b32 v6, v6, 9, 0x7c00
	v_lshl_or_b32 v10, v10, 9, 0x7c00
	s_or_b32 vcc_lo, s0, vcc_lo
	v_add_co_ci_u32_e32 v13, vcc_lo, 0, v13, vcc_lo
	s_or_b32 vcc_lo, s2, s1
	v_add_co_ci_u32_e32 v8, vcc_lo, 0, v8, vcc_lo
	v_cmp_gt_i32_e32 vcc_lo, 31, v12
	v_cndmask_b32_e32 v13, 0x7c00, v13, vcc_lo
	v_cmp_gt_i32_e32 vcc_lo, 31, v14
	v_cndmask_b32_e32 v8, 0x7c00, v8, vcc_lo
	v_cmp_eq_u32_e32 vcc_lo, 0x40f, v12
	v_cndmask_b32_e32 v6, v13, v6, vcc_lo
	v_cmp_eq_u32_e32 vcc_lo, 0x40f, v14
	v_and_or_b32 v6, 0x8000, v9, v6
	v_cndmask_b32_e32 v8, v8, v10, vcc_lo
	v_add_co_u32 v4, vcc_lo, v4, s4
	v_add_co_ci_u32_e32 v5, vcc_lo, s3, v5, vcc_lo
	v_and_or_b32 v8, 0x8000, v11, v8
	v_and_b32_e32 v6, 0xffff, v6
	v_lshl_or_b32 v6, v8, 16, v6
	v_lshrrev_b32_e32 v8, 16, v7
	global_store_dword v[4:5], v6, off
	global_load_dword v6, v[0:1], off offset:952
	s_waitcnt vmcnt(0)
	v_mul_f16_sdwa v9, v8, v6 dst_sel:DWORD dst_unused:UNUSED_PAD src0_sel:DWORD src1_sel:WORD_1
	v_mul_f16_sdwa v10, v7, v6 dst_sel:DWORD dst_unused:UNUSED_PAD src0_sel:DWORD src1_sel:WORD_1
	v_fmac_f16_e32 v9, v7, v6
	v_fma_f16 v6, v6, v8, -v10
	v_cvt_f32_f16_e32 v7, v9
	v_cvt_f32_f16_e32 v8, v6
	v_cvt_f64_f32_e32 v[6:7], v7
	v_cvt_f64_f32_e32 v[8:9], v8
	v_mul_f64 v[6:7], v[6:7], s[8:9]
	v_mul_f64 v[8:9], v[8:9], s[8:9]
	v_and_or_b32 v6, 0x1ff, v7, v6
	v_and_or_b32 v8, 0x1ff, v9, v8
	v_lshrrev_b32_e32 v10, 8, v7
	v_bfe_u32 v11, v7, 20, 11
	v_lshrrev_b32_e32 v12, 8, v9
	v_cmp_ne_u32_e32 vcc_lo, 0, v6
	v_bfe_u32 v13, v9, 20, 11
	v_lshrrev_b32_e32 v7, 16, v7
	v_sub_nc_u32_e32 v14, 0x3f1, v11
	v_add_nc_u32_e32 v11, 0xfffffc10, v11
	v_cndmask_b32_e64 v6, 0, 1, vcc_lo
	v_cmp_ne_u32_e32 vcc_lo, 0, v8
	v_lshrrev_b32_e32 v9, 16, v9
	v_and_or_b32 v6, 0xffe, v10, v6
	v_cndmask_b32_e64 v8, 0, 1, vcc_lo
	v_sub_nc_u32_e32 v10, 0x3f1, v13
	v_add_nc_u32_e32 v13, 0xfffffc10, v13
	v_and_or_b32 v8, 0xffe, v12, v8
	v_med3_i32 v12, v14, 0, 13
	v_or_b32_e32 v14, 0x1000, v6
	v_med3_i32 v10, v10, 0, 13
	v_or_b32_e32 v15, 0x1000, v8
	v_lshrrev_b32_e32 v16, v12, v14
	v_lshrrev_b32_e32 v17, v10, v15
	v_lshlrev_b32_e32 v12, v12, v16
	v_lshlrev_b32_e32 v10, v10, v17
	v_cmp_ne_u32_e32 vcc_lo, v12, v14
	v_lshl_or_b32 v14, v11, 12, v6
	v_cndmask_b32_e64 v12, 0, 1, vcc_lo
	v_cmp_ne_u32_e32 vcc_lo, v10, v15
	v_lshl_or_b32 v15, v13, 12, v8
	v_or_b32_e32 v12, v16, v12
	v_cndmask_b32_e64 v10, 0, 1, vcc_lo
	v_cmp_gt_i32_e32 vcc_lo, 1, v11
	v_or_b32_e32 v10, v17, v10
	v_cndmask_b32_e32 v12, v14, v12, vcc_lo
	v_cmp_gt_i32_e32 vcc_lo, 1, v13
	v_and_b32_e32 v14, 7, v12
	v_cndmask_b32_e32 v10, v15, v10, vcc_lo
	v_cmp_ne_u32_e32 vcc_lo, 0, v6
	v_lshrrev_b32_e32 v12, 2, v12
	v_cmp_eq_u32_e64 s0, 3, v14
	v_and_b32_e32 v15, 7, v10
	v_cndmask_b32_e64 v6, 0, 1, vcc_lo
	v_cmp_ne_u32_e32 vcc_lo, 0, v8
	v_lshrrev_b32_e32 v10, 2, v10
	v_cmp_lt_i32_e64 s1, 5, v15
	v_cmp_eq_u32_e64 s2, 3, v15
	v_cndmask_b32_e64 v8, 0, 1, vcc_lo
	v_cmp_lt_i32_e32 vcc_lo, 5, v14
	v_lshl_or_b32 v6, v6, 9, 0x7c00
	v_lshl_or_b32 v8, v8, 9, 0x7c00
	s_or_b32 vcc_lo, s0, vcc_lo
	v_add_co_ci_u32_e32 v12, vcc_lo, 0, v12, vcc_lo
	s_or_b32 vcc_lo, s2, s1
	v_add_co_ci_u32_e32 v10, vcc_lo, 0, v10, vcc_lo
	v_cmp_gt_i32_e32 vcc_lo, 31, v11
	v_cndmask_b32_e32 v12, 0x7c00, v12, vcc_lo
	v_cmp_gt_i32_e32 vcc_lo, 31, v13
	v_cndmask_b32_e32 v10, 0x7c00, v10, vcc_lo
	v_cmp_eq_u32_e32 vcc_lo, 0x40f, v11
	v_cndmask_b32_e32 v6, v12, v6, vcc_lo
	v_cmp_eq_u32_e32 vcc_lo, 0x40f, v13
	v_and_or_b32 v6, 0x8000, v7, v6
	v_cndmask_b32_e32 v8, v10, v8, vcc_lo
	v_add_co_u32 v4, vcc_lo, v4, s4
	v_add_co_ci_u32_e32 v5, vcc_lo, s3, v5, vcc_lo
	v_and_or_b32 v7, 0x8000, v9, v8
	v_and_b32_e32 v6, 0xffff, v6
	v_lshl_or_b32 v6, v7, 16, v6
	global_store_dword v[4:5], v6, off
	global_load_dword v8, v[0:1], off offset:1252
	v_add_nc_u32_e32 v6, 0xc00, v53
	ds_read2_b32 v[6:7], v6 offset0:57 offset1:132
	s_waitcnt lgkmcnt(0)
	v_lshrrev_b32_e32 v9, 16, v6
	s_waitcnt vmcnt(0)
	v_mul_f16_sdwa v10, v9, v8 dst_sel:DWORD dst_unused:UNUSED_PAD src0_sel:DWORD src1_sel:WORD_1
	v_mul_f16_sdwa v11, v6, v8 dst_sel:DWORD dst_unused:UNUSED_PAD src0_sel:DWORD src1_sel:WORD_1
	v_fmac_f16_e32 v10, v6, v8
	v_fma_f16 v6, v8, v9, -v11
	v_cvt_f32_f16_e32 v8, v10
	v_cvt_f32_f16_e32 v6, v6
	v_cvt_f64_f32_e32 v[8:9], v8
	v_cvt_f64_f32_e32 v[10:11], v6
	v_mul_f64 v[8:9], v[8:9], s[8:9]
	v_mul_f64 v[10:11], v[10:11], s[8:9]
	v_and_or_b32 v6, 0x1ff, v9, v8
	v_and_or_b32 v10, 0x1ff, v11, v10
	v_lshrrev_b32_e32 v8, 8, v9
	v_bfe_u32 v12, v9, 20, 11
	v_lshrrev_b32_e32 v13, 8, v11
	v_cmp_ne_u32_e32 vcc_lo, 0, v6
	v_bfe_u32 v14, v11, 20, 11
	v_lshrrev_b32_e32 v9, 16, v9
	v_sub_nc_u32_e32 v15, 0x3f1, v12
	v_add_nc_u32_e32 v12, 0xfffffc10, v12
	v_cndmask_b32_e64 v6, 0, 1, vcc_lo
	v_cmp_ne_u32_e32 vcc_lo, 0, v10
	v_lshrrev_b32_e32 v11, 16, v11
	v_and_or_b32 v6, 0xffe, v8, v6
	v_cndmask_b32_e64 v10, 0, 1, vcc_lo
	v_sub_nc_u32_e32 v8, 0x3f1, v14
	v_add_nc_u32_e32 v14, 0xfffffc10, v14
	v_and_or_b32 v10, 0xffe, v13, v10
	v_med3_i32 v13, v15, 0, 13
	v_or_b32_e32 v15, 0x1000, v6
	v_med3_i32 v8, v8, 0, 13
	v_or_b32_e32 v16, 0x1000, v10
	v_lshrrev_b32_e32 v17, v13, v15
	v_lshrrev_b32_e32 v18, v8, v16
	v_lshlrev_b32_e32 v13, v13, v17
	v_lshlrev_b32_e32 v8, v8, v18
	v_cmp_ne_u32_e32 vcc_lo, v13, v15
	v_lshl_or_b32 v15, v12, 12, v6
	v_cndmask_b32_e64 v13, 0, 1, vcc_lo
	v_cmp_ne_u32_e32 vcc_lo, v8, v16
	v_lshl_or_b32 v16, v14, 12, v10
	v_or_b32_e32 v13, v17, v13
	v_cndmask_b32_e64 v8, 0, 1, vcc_lo
	v_cmp_gt_i32_e32 vcc_lo, 1, v12
	v_or_b32_e32 v8, v18, v8
	v_cndmask_b32_e32 v13, v15, v13, vcc_lo
	v_cmp_gt_i32_e32 vcc_lo, 1, v14
	v_and_b32_e32 v15, 7, v13
	v_cndmask_b32_e32 v8, v16, v8, vcc_lo
	v_cmp_ne_u32_e32 vcc_lo, 0, v6
	v_lshrrev_b32_e32 v13, 2, v13
	v_cmp_eq_u32_e64 s0, 3, v15
	v_and_b32_e32 v16, 7, v8
	v_cndmask_b32_e64 v6, 0, 1, vcc_lo
	v_cmp_ne_u32_e32 vcc_lo, 0, v10
	v_lshrrev_b32_e32 v8, 2, v8
	v_cmp_lt_i32_e64 s1, 5, v16
	v_cmp_eq_u32_e64 s2, 3, v16
	v_cndmask_b32_e64 v10, 0, 1, vcc_lo
	v_cmp_lt_i32_e32 vcc_lo, 5, v15
	v_lshl_or_b32 v6, v6, 9, 0x7c00
	v_lshl_or_b32 v10, v10, 9, 0x7c00
	s_or_b32 vcc_lo, s0, vcc_lo
	v_add_co_ci_u32_e32 v13, vcc_lo, 0, v13, vcc_lo
	s_or_b32 vcc_lo, s2, s1
	v_add_co_ci_u32_e32 v8, vcc_lo, 0, v8, vcc_lo
	v_cmp_gt_i32_e32 vcc_lo, 31, v12
	v_cndmask_b32_e32 v13, 0x7c00, v13, vcc_lo
	v_cmp_gt_i32_e32 vcc_lo, 31, v14
	v_cndmask_b32_e32 v8, 0x7c00, v8, vcc_lo
	v_cmp_eq_u32_e32 vcc_lo, 0x40f, v12
	v_cndmask_b32_e32 v6, v13, v6, vcc_lo
	v_cmp_eq_u32_e32 vcc_lo, 0x40f, v14
	v_and_or_b32 v6, 0x8000, v9, v6
	v_cndmask_b32_e32 v8, v8, v10, vcc_lo
	v_add_co_u32 v4, vcc_lo, v4, s4
	v_add_co_ci_u32_e32 v5, vcc_lo, s3, v5, vcc_lo
	v_and_or_b32 v8, 0x8000, v11, v8
	v_and_b32_e32 v6, 0xffff, v6
	v_lshl_or_b32 v6, v8, 16, v6
	v_lshrrev_b32_e32 v8, 16, v7
	global_store_dword v[4:5], v6, off
	global_load_dword v6, v[0:1], off offset:1552
	s_waitcnt vmcnt(0)
	v_mul_f16_sdwa v9, v8, v6 dst_sel:DWORD dst_unused:UNUSED_PAD src0_sel:DWORD src1_sel:WORD_1
	v_mul_f16_sdwa v10, v7, v6 dst_sel:DWORD dst_unused:UNUSED_PAD src0_sel:DWORD src1_sel:WORD_1
	v_fmac_f16_e32 v9, v7, v6
	v_fma_f16 v6, v6, v8, -v10
	v_cvt_f32_f16_e32 v7, v9
	v_cvt_f32_f16_e32 v8, v6
	v_cvt_f64_f32_e32 v[6:7], v7
	v_cvt_f64_f32_e32 v[8:9], v8
	v_mul_f64 v[6:7], v[6:7], s[8:9]
	v_mul_f64 v[8:9], v[8:9], s[8:9]
	v_and_or_b32 v6, 0x1ff, v7, v6
	v_and_or_b32 v8, 0x1ff, v9, v8
	v_lshrrev_b32_e32 v10, 8, v7
	v_bfe_u32 v11, v7, 20, 11
	v_lshrrev_b32_e32 v12, 8, v9
	v_cmp_ne_u32_e32 vcc_lo, 0, v6
	v_bfe_u32 v13, v9, 20, 11
	v_lshrrev_b32_e32 v7, 16, v7
	v_sub_nc_u32_e32 v14, 0x3f1, v11
	v_add_nc_u32_e32 v11, 0xfffffc10, v11
	v_cndmask_b32_e64 v6, 0, 1, vcc_lo
	v_cmp_ne_u32_e32 vcc_lo, 0, v8
	v_lshrrev_b32_e32 v9, 16, v9
	v_and_or_b32 v6, 0xffe, v10, v6
	v_cndmask_b32_e64 v8, 0, 1, vcc_lo
	v_sub_nc_u32_e32 v10, 0x3f1, v13
	v_add_nc_u32_e32 v13, 0xfffffc10, v13
	v_and_or_b32 v8, 0xffe, v12, v8
	v_med3_i32 v12, v14, 0, 13
	v_or_b32_e32 v14, 0x1000, v6
	v_med3_i32 v10, v10, 0, 13
	v_or_b32_e32 v15, 0x1000, v8
	v_lshrrev_b32_e32 v16, v12, v14
	v_lshrrev_b32_e32 v17, v10, v15
	v_lshlrev_b32_e32 v12, v12, v16
	v_lshlrev_b32_e32 v10, v10, v17
	v_cmp_ne_u32_e32 vcc_lo, v12, v14
	v_lshl_or_b32 v14, v11, 12, v6
	v_cndmask_b32_e64 v12, 0, 1, vcc_lo
	v_cmp_ne_u32_e32 vcc_lo, v10, v15
	v_lshl_or_b32 v15, v13, 12, v8
	v_or_b32_e32 v12, v16, v12
	v_cndmask_b32_e64 v10, 0, 1, vcc_lo
	v_cmp_gt_i32_e32 vcc_lo, 1, v11
	v_or_b32_e32 v10, v17, v10
	v_cndmask_b32_e32 v12, v14, v12, vcc_lo
	v_cmp_gt_i32_e32 vcc_lo, 1, v13
	v_and_b32_e32 v14, 7, v12
	v_cndmask_b32_e32 v10, v15, v10, vcc_lo
	v_cmp_ne_u32_e32 vcc_lo, 0, v6
	v_lshrrev_b32_e32 v12, 2, v12
	v_cmp_eq_u32_e64 s0, 3, v14
	v_and_b32_e32 v15, 7, v10
	v_cndmask_b32_e64 v6, 0, 1, vcc_lo
	v_cmp_ne_u32_e32 vcc_lo, 0, v8
	v_lshrrev_b32_e32 v10, 2, v10
	v_cmp_lt_i32_e64 s1, 5, v15
	v_cmp_eq_u32_e64 s2, 3, v15
	v_cndmask_b32_e64 v8, 0, 1, vcc_lo
	v_cmp_lt_i32_e32 vcc_lo, 5, v14
	v_lshl_or_b32 v6, v6, 9, 0x7c00
	v_lshl_or_b32 v8, v8, 9, 0x7c00
	s_or_b32 vcc_lo, s0, vcc_lo
	v_add_co_ci_u32_e32 v12, vcc_lo, 0, v12, vcc_lo
	s_or_b32 vcc_lo, s2, s1
	v_add_co_ci_u32_e32 v10, vcc_lo, 0, v10, vcc_lo
	v_cmp_gt_i32_e32 vcc_lo, 31, v11
	v_cndmask_b32_e32 v12, 0x7c00, v12, vcc_lo
	v_cmp_gt_i32_e32 vcc_lo, 31, v13
	v_cndmask_b32_e32 v10, 0x7c00, v10, vcc_lo
	v_cmp_eq_u32_e32 vcc_lo, 0x40f, v11
	v_cndmask_b32_e32 v6, v12, v6, vcc_lo
	v_cmp_eq_u32_e32 vcc_lo, 0x40f, v13
	v_and_or_b32 v6, 0x8000, v7, v6
	v_cndmask_b32_e32 v8, v10, v8, vcc_lo
	v_add_co_u32 v4, vcc_lo, v4, s4
	v_add_co_ci_u32_e32 v5, vcc_lo, s3, v5, vcc_lo
	v_and_or_b32 v7, 0x8000, v9, v8
	v_and_b32_e32 v6, 0xffff, v6
	v_lshl_or_b32 v6, v7, 16, v6
	global_store_dword v[4:5], v6, off
	global_load_dword v6, v[0:1], off offset:1852
	v_add_nc_u32_e32 v0, 0xe00, v53
	ds_read2_b32 v[0:1], v0 offset0:79 offset1:154
	s_waitcnt lgkmcnt(0)
	v_lshrrev_b32_e32 v7, 16, v0
	s_waitcnt vmcnt(0)
	v_mul_f16_sdwa v8, v7, v6 dst_sel:DWORD dst_unused:UNUSED_PAD src0_sel:DWORD src1_sel:WORD_1
	v_mul_f16_sdwa v9, v0, v6 dst_sel:DWORD dst_unused:UNUSED_PAD src0_sel:DWORD src1_sel:WORD_1
	v_fmac_f16_e32 v8, v0, v6
	v_fma_f16 v0, v6, v7, -v9
	v_cvt_f32_f16_e32 v6, v8
	v_cvt_f32_f16_e32 v0, v0
	v_cvt_f64_f32_e32 v[6:7], v6
	v_cvt_f64_f32_e32 v[8:9], v0
	v_mul_f64 v[6:7], v[6:7], s[8:9]
	v_mul_f64 v[8:9], v[8:9], s[8:9]
	v_and_or_b32 v0, 0x1ff, v7, v6
	v_and_or_b32 v8, 0x1ff, v9, v8
	v_lshrrev_b32_e32 v6, 8, v7
	v_bfe_u32 v10, v7, 20, 11
	v_lshrrev_b32_e32 v11, 8, v9
	v_cmp_ne_u32_e32 vcc_lo, 0, v0
	v_bfe_u32 v12, v9, 20, 11
	v_lshrrev_b32_e32 v7, 16, v7
	v_sub_nc_u32_e32 v13, 0x3f1, v10
	v_add_nc_u32_e32 v10, 0xfffffc10, v10
	v_cndmask_b32_e64 v0, 0, 1, vcc_lo
	v_cmp_ne_u32_e32 vcc_lo, 0, v8
	v_lshrrev_b32_e32 v9, 16, v9
	v_and_or_b32 v0, 0xffe, v6, v0
	v_cndmask_b32_e64 v8, 0, 1, vcc_lo
	v_sub_nc_u32_e32 v6, 0x3f1, v12
	v_add_nc_u32_e32 v12, 0xfffffc10, v12
	v_and_or_b32 v8, 0xffe, v11, v8
	v_med3_i32 v11, v13, 0, 13
	v_or_b32_e32 v13, 0x1000, v0
	v_med3_i32 v6, v6, 0, 13
	v_or_b32_e32 v14, 0x1000, v8
	v_lshrrev_b32_e32 v15, v11, v13
	v_lshrrev_b32_e32 v16, v6, v14
	v_lshlrev_b32_e32 v11, v11, v15
	v_lshlrev_b32_e32 v6, v6, v16
	v_cmp_ne_u32_e32 vcc_lo, v11, v13
	v_lshl_or_b32 v13, v10, 12, v0
	v_cndmask_b32_e64 v11, 0, 1, vcc_lo
	v_cmp_ne_u32_e32 vcc_lo, v6, v14
	v_lshl_or_b32 v14, v12, 12, v8
	v_or_b32_e32 v11, v15, v11
	v_cndmask_b32_e64 v6, 0, 1, vcc_lo
	v_cmp_gt_i32_e32 vcc_lo, 1, v10
	v_or_b32_e32 v6, v16, v6
	v_cndmask_b32_e32 v11, v13, v11, vcc_lo
	v_cmp_gt_i32_e32 vcc_lo, 1, v12
	v_and_b32_e32 v13, 7, v11
	v_cndmask_b32_e32 v6, v14, v6, vcc_lo
	v_cmp_ne_u32_e32 vcc_lo, 0, v0
	v_lshrrev_b32_e32 v11, 2, v11
	v_cmp_eq_u32_e64 s0, 3, v13
	v_and_b32_e32 v14, 7, v6
	v_cndmask_b32_e64 v0, 0, 1, vcc_lo
	v_cmp_ne_u32_e32 vcc_lo, 0, v8
	v_lshrrev_b32_e32 v6, 2, v6
	v_cmp_lt_i32_e64 s1, 5, v14
	v_cmp_eq_u32_e64 s2, 3, v14
	v_cndmask_b32_e64 v8, 0, 1, vcc_lo
	v_cmp_lt_i32_e32 vcc_lo, 5, v13
	v_lshl_or_b32 v0, v0, 9, 0x7c00
	v_lshl_or_b32 v8, v8, 9, 0x7c00
	s_or_b32 vcc_lo, s0, vcc_lo
	v_add_co_ci_u32_e32 v11, vcc_lo, 0, v11, vcc_lo
	s_or_b32 vcc_lo, s2, s1
	v_add_co_ci_u32_e32 v6, vcc_lo, 0, v6, vcc_lo
	v_cmp_gt_i32_e32 vcc_lo, 31, v10
	v_cndmask_b32_e32 v11, 0x7c00, v11, vcc_lo
	v_cmp_gt_i32_e32 vcc_lo, 31, v12
	v_cndmask_b32_e32 v6, 0x7c00, v6, vcc_lo
	v_cmp_eq_u32_e32 vcc_lo, 0x40f, v10
	v_cndmask_b32_e32 v0, v11, v0, vcc_lo
	v_cmp_eq_u32_e32 vcc_lo, 0x40f, v12
	v_and_or_b32 v0, 0x8000, v7, v0
	v_cndmask_b32_e32 v6, v6, v8, vcc_lo
	v_add_co_u32 v4, vcc_lo, v4, s4
	v_add_co_ci_u32_e32 v5, vcc_lo, s3, v5, vcc_lo
	v_and_or_b32 v6, 0x8000, v9, v6
	v_and_b32_e32 v0, 0xffff, v0
	v_add_co_u32 v2, vcc_lo, 0x1000, v2
	v_add_co_ci_u32_e32 v3, vcc_lo, 0, v3, vcc_lo
	v_lshl_or_b32 v0, v6, 16, v0
	v_lshrrev_b32_e32 v6, 16, v1
	global_store_dword v[4:5], v0, off
	global_load_dword v0, v[2:3], off offset:104
	s_waitcnt vmcnt(0)
	v_mul_f16_sdwa v7, v6, v0 dst_sel:DWORD dst_unused:UNUSED_PAD src0_sel:DWORD src1_sel:WORD_1
	v_mul_f16_sdwa v8, v1, v0 dst_sel:DWORD dst_unused:UNUSED_PAD src0_sel:DWORD src1_sel:WORD_1
	v_fmac_f16_e32 v7, v1, v0
	v_fma_f16 v0, v0, v6, -v8
	v_cvt_f32_f16_e32 v1, v7
	v_cvt_f32_f16_e32 v6, v0
	v_cvt_f64_f32_e32 v[0:1], v1
	v_cvt_f64_f32_e32 v[6:7], v6
	v_mul_f64 v[0:1], v[0:1], s[8:9]
	v_mul_f64 v[6:7], v[6:7], s[8:9]
	v_and_or_b32 v0, 0x1ff, v1, v0
	v_and_or_b32 v6, 0x1ff, v7, v6
	v_lshrrev_b32_e32 v8, 8, v1
	v_bfe_u32 v9, v1, 20, 11
	v_lshrrev_b32_e32 v10, 8, v7
	v_cmp_ne_u32_e32 vcc_lo, 0, v0
	v_bfe_u32 v11, v7, 20, 11
	v_lshrrev_b32_e32 v1, 16, v1
	v_sub_nc_u32_e32 v12, 0x3f1, v9
	v_add_nc_u32_e32 v9, 0xfffffc10, v9
	v_cndmask_b32_e64 v0, 0, 1, vcc_lo
	v_cmp_ne_u32_e32 vcc_lo, 0, v6
	v_lshrrev_b32_e32 v7, 16, v7
	v_and_or_b32 v0, 0xffe, v8, v0
	v_cndmask_b32_e64 v6, 0, 1, vcc_lo
	v_sub_nc_u32_e32 v8, 0x3f1, v11
	v_add_nc_u32_e32 v11, 0xfffffc10, v11
	v_and_or_b32 v6, 0xffe, v10, v6
	v_med3_i32 v10, v12, 0, 13
	v_or_b32_e32 v12, 0x1000, v0
	v_med3_i32 v8, v8, 0, 13
	v_or_b32_e32 v13, 0x1000, v6
	v_lshrrev_b32_e32 v14, v10, v12
	v_lshrrev_b32_e32 v15, v8, v13
	v_lshlrev_b32_e32 v10, v10, v14
	v_lshlrev_b32_e32 v8, v8, v15
	v_cmp_ne_u32_e32 vcc_lo, v10, v12
	v_lshl_or_b32 v12, v9, 12, v0
	v_cndmask_b32_e64 v10, 0, 1, vcc_lo
	v_cmp_ne_u32_e32 vcc_lo, v8, v13
	v_lshl_or_b32 v13, v11, 12, v6
	v_or_b32_e32 v10, v14, v10
	v_cndmask_b32_e64 v8, 0, 1, vcc_lo
	v_cmp_gt_i32_e32 vcc_lo, 1, v9
	v_or_b32_e32 v8, v15, v8
	v_cndmask_b32_e32 v10, v12, v10, vcc_lo
	v_cmp_gt_i32_e32 vcc_lo, 1, v11
	v_and_b32_e32 v12, 7, v10
	v_cndmask_b32_e32 v8, v13, v8, vcc_lo
	v_cmp_ne_u32_e32 vcc_lo, 0, v0
	v_lshrrev_b32_e32 v10, 2, v10
	v_cmp_eq_u32_e64 s0, 3, v12
	v_and_b32_e32 v13, 7, v8
	v_cndmask_b32_e64 v0, 0, 1, vcc_lo
	v_cmp_ne_u32_e32 vcc_lo, 0, v6
	v_lshrrev_b32_e32 v8, 2, v8
	v_cmp_lt_i32_e64 s1, 5, v13
	v_cmp_eq_u32_e64 s2, 3, v13
	v_cndmask_b32_e64 v6, 0, 1, vcc_lo
	v_cmp_lt_i32_e32 vcc_lo, 5, v12
	v_lshl_or_b32 v0, v0, 9, 0x7c00
	v_lshl_or_b32 v6, v6, 9, 0x7c00
	s_or_b32 vcc_lo, s0, vcc_lo
	v_add_co_ci_u32_e32 v10, vcc_lo, 0, v10, vcc_lo
	s_or_b32 vcc_lo, s2, s1
	v_add_co_ci_u32_e32 v8, vcc_lo, 0, v8, vcc_lo
	v_cmp_gt_i32_e32 vcc_lo, 31, v9
	v_cndmask_b32_e32 v10, 0x7c00, v10, vcc_lo
	v_cmp_gt_i32_e32 vcc_lo, 31, v11
	v_cndmask_b32_e32 v8, 0x7c00, v8, vcc_lo
	v_cmp_eq_u32_e32 vcc_lo, 0x40f, v9
	v_cndmask_b32_e32 v0, v10, v0, vcc_lo
	v_cmp_eq_u32_e32 vcc_lo, 0x40f, v11
	v_and_or_b32 v0, 0x8000, v1, v0
	v_cndmask_b32_e32 v6, v8, v6, vcc_lo
	v_and_or_b32 v6, 0x8000, v7, v6
	v_and_b32_e32 v7, 0xffff, v0
	v_add_co_u32 v0, vcc_lo, v4, s4
	v_add_co_ci_u32_e32 v1, vcc_lo, s3, v5, vcc_lo
	v_lshl_or_b32 v4, v6, 16, v7
	global_store_dword v[0:1], v4, off
	global_load_dword v6, v[2:3], off offset:404
	v_add_nc_u32_e32 v4, 0x1000, v53
	ds_read2_b32 v[4:5], v4 offset0:101 offset1:176
	s_waitcnt lgkmcnt(0)
	v_lshrrev_b32_e32 v7, 16, v4
	s_waitcnt vmcnt(0)
	v_mul_f16_sdwa v8, v7, v6 dst_sel:DWORD dst_unused:UNUSED_PAD src0_sel:DWORD src1_sel:WORD_1
	v_mul_f16_sdwa v9, v4, v6 dst_sel:DWORD dst_unused:UNUSED_PAD src0_sel:DWORD src1_sel:WORD_1
	v_fmac_f16_e32 v8, v4, v6
	v_fma_f16 v4, v6, v7, -v9
	v_cvt_f32_f16_e32 v6, v8
	v_cvt_f32_f16_e32 v4, v4
	v_cvt_f64_f32_e32 v[6:7], v6
	v_cvt_f64_f32_e32 v[8:9], v4
	v_mul_f64 v[6:7], v[6:7], s[8:9]
	v_mul_f64 v[8:9], v[8:9], s[8:9]
	v_and_or_b32 v4, 0x1ff, v7, v6
	v_and_or_b32 v8, 0x1ff, v9, v8
	v_lshrrev_b32_e32 v6, 8, v7
	v_bfe_u32 v10, v7, 20, 11
	v_lshrrev_b32_e32 v11, 8, v9
	v_cmp_ne_u32_e32 vcc_lo, 0, v4
	v_bfe_u32 v12, v9, 20, 11
	v_lshrrev_b32_e32 v7, 16, v7
	v_sub_nc_u32_e32 v13, 0x3f1, v10
	v_add_nc_u32_e32 v10, 0xfffffc10, v10
	v_cndmask_b32_e64 v4, 0, 1, vcc_lo
	v_cmp_ne_u32_e32 vcc_lo, 0, v8
	v_lshrrev_b32_e32 v9, 16, v9
	v_and_or_b32 v4, 0xffe, v6, v4
	v_cndmask_b32_e64 v8, 0, 1, vcc_lo
	v_sub_nc_u32_e32 v6, 0x3f1, v12
	v_add_nc_u32_e32 v12, 0xfffffc10, v12
	v_and_or_b32 v8, 0xffe, v11, v8
	v_med3_i32 v11, v13, 0, 13
	v_or_b32_e32 v13, 0x1000, v4
	v_med3_i32 v6, v6, 0, 13
	v_or_b32_e32 v14, 0x1000, v8
	v_lshrrev_b32_e32 v15, v11, v13
	v_lshrrev_b32_e32 v16, v6, v14
	v_lshlrev_b32_e32 v11, v11, v15
	v_lshlrev_b32_e32 v6, v6, v16
	v_cmp_ne_u32_e32 vcc_lo, v11, v13
	v_lshl_or_b32 v13, v10, 12, v4
	v_cndmask_b32_e64 v11, 0, 1, vcc_lo
	v_cmp_ne_u32_e32 vcc_lo, v6, v14
	v_lshl_or_b32 v14, v12, 12, v8
	v_or_b32_e32 v11, v15, v11
	v_cndmask_b32_e64 v6, 0, 1, vcc_lo
	v_cmp_gt_i32_e32 vcc_lo, 1, v10
	v_or_b32_e32 v6, v16, v6
	v_cndmask_b32_e32 v11, v13, v11, vcc_lo
	v_cmp_gt_i32_e32 vcc_lo, 1, v12
	v_and_b32_e32 v13, 7, v11
	v_cndmask_b32_e32 v6, v14, v6, vcc_lo
	v_cmp_ne_u32_e32 vcc_lo, 0, v4
	v_lshrrev_b32_e32 v11, 2, v11
	v_cmp_eq_u32_e64 s0, 3, v13
	v_and_b32_e32 v14, 7, v6
	v_cndmask_b32_e64 v4, 0, 1, vcc_lo
	v_cmp_ne_u32_e32 vcc_lo, 0, v8
	v_lshrrev_b32_e32 v6, 2, v6
	v_cmp_lt_i32_e64 s1, 5, v14
	v_cmp_eq_u32_e64 s2, 3, v14
	v_cndmask_b32_e64 v8, 0, 1, vcc_lo
	v_cmp_lt_i32_e32 vcc_lo, 5, v13
	v_lshl_or_b32 v4, v4, 9, 0x7c00
	v_lshl_or_b32 v8, v8, 9, 0x7c00
	s_or_b32 vcc_lo, s0, vcc_lo
	v_add_co_ci_u32_e32 v11, vcc_lo, 0, v11, vcc_lo
	s_or_b32 vcc_lo, s2, s1
	v_add_co_ci_u32_e32 v6, vcc_lo, 0, v6, vcc_lo
	v_cmp_gt_i32_e32 vcc_lo, 31, v10
	v_cndmask_b32_e32 v11, 0x7c00, v11, vcc_lo
	v_cmp_gt_i32_e32 vcc_lo, 31, v12
	v_cndmask_b32_e32 v6, 0x7c00, v6, vcc_lo
	v_cmp_eq_u32_e32 vcc_lo, 0x40f, v10
	v_cndmask_b32_e32 v4, v11, v4, vcc_lo
	v_cmp_eq_u32_e32 vcc_lo, 0x40f, v12
	v_and_or_b32 v4, 0x8000, v7, v4
	v_cndmask_b32_e32 v6, v6, v8, vcc_lo
	v_add_co_u32 v0, vcc_lo, v0, s4
	v_add_co_ci_u32_e32 v1, vcc_lo, s3, v1, vcc_lo
	v_and_or_b32 v6, 0x8000, v9, v6
	v_and_b32_e32 v4, 0xffff, v4
	v_lshl_or_b32 v4, v6, 16, v4
	global_store_dword v[0:1], v4, off
	global_load_dword v2, v[2:3], off offset:704
	v_lshrrev_b32_e32 v3, 16, v5
	s_waitcnt vmcnt(0)
	v_mul_f16_sdwa v4, v3, v2 dst_sel:DWORD dst_unused:UNUSED_PAD src0_sel:DWORD src1_sel:WORD_1
	v_mul_f16_sdwa v6, v5, v2 dst_sel:DWORD dst_unused:UNUSED_PAD src0_sel:DWORD src1_sel:WORD_1
	v_fmac_f16_e32 v4, v5, v2
	v_fma_f16 v2, v2, v3, -v6
	v_cvt_f32_f16_e32 v3, v4
	v_cvt_f32_f16_e32 v4, v2
	v_cvt_f64_f32_e32 v[2:3], v3
	v_cvt_f64_f32_e32 v[4:5], v4
	v_mul_f64 v[2:3], v[2:3], s[8:9]
	v_mul_f64 v[4:5], v[4:5], s[8:9]
	v_and_or_b32 v2, 0x1ff, v3, v2
	v_and_or_b32 v4, 0x1ff, v5, v4
	v_lshrrev_b32_e32 v6, 8, v3
	v_bfe_u32 v7, v3, 20, 11
	v_lshrrev_b32_e32 v8, 8, v5
	v_cmp_ne_u32_e32 vcc_lo, 0, v2
	v_bfe_u32 v9, v5, 20, 11
	v_lshrrev_b32_e32 v3, 16, v3
	v_sub_nc_u32_e32 v10, 0x3f1, v7
	v_add_nc_u32_e32 v7, 0xfffffc10, v7
	v_cndmask_b32_e64 v2, 0, 1, vcc_lo
	v_cmp_ne_u32_e32 vcc_lo, 0, v4
	v_lshrrev_b32_e32 v5, 16, v5
	v_and_or_b32 v2, 0xffe, v6, v2
	v_cndmask_b32_e64 v4, 0, 1, vcc_lo
	v_sub_nc_u32_e32 v6, 0x3f1, v9
	v_add_nc_u32_e32 v9, 0xfffffc10, v9
	v_and_or_b32 v4, 0xffe, v8, v4
	v_med3_i32 v8, v10, 0, 13
	v_or_b32_e32 v10, 0x1000, v2
	v_med3_i32 v6, v6, 0, 13
	v_or_b32_e32 v11, 0x1000, v4
	v_lshrrev_b32_e32 v12, v8, v10
	v_lshrrev_b32_e32 v13, v6, v11
	v_lshlrev_b32_e32 v8, v8, v12
	v_lshlrev_b32_e32 v6, v6, v13
	v_cmp_ne_u32_e32 vcc_lo, v8, v10
	v_lshl_or_b32 v10, v7, 12, v2
	v_cndmask_b32_e64 v8, 0, 1, vcc_lo
	v_cmp_ne_u32_e32 vcc_lo, v6, v11
	v_lshl_or_b32 v11, v9, 12, v4
	v_or_b32_e32 v8, v12, v8
	v_cndmask_b32_e64 v6, 0, 1, vcc_lo
	v_cmp_gt_i32_e32 vcc_lo, 1, v7
	v_or_b32_e32 v6, v13, v6
	v_cndmask_b32_e32 v8, v10, v8, vcc_lo
	v_cmp_gt_i32_e32 vcc_lo, 1, v9
	v_and_b32_e32 v10, 7, v8
	v_cndmask_b32_e32 v6, v11, v6, vcc_lo
	v_cmp_ne_u32_e32 vcc_lo, 0, v2
	v_lshrrev_b32_e32 v8, 2, v8
	v_cmp_eq_u32_e64 s0, 3, v10
	v_and_b32_e32 v11, 7, v6
	v_cndmask_b32_e64 v2, 0, 1, vcc_lo
	v_cmp_ne_u32_e32 vcc_lo, 0, v4
	v_lshrrev_b32_e32 v6, 2, v6
	v_cmp_lt_i32_e64 s1, 5, v11
	v_cmp_eq_u32_e64 s2, 3, v11
	v_cndmask_b32_e64 v4, 0, 1, vcc_lo
	v_cmp_lt_i32_e32 vcc_lo, 5, v10
	v_lshl_or_b32 v2, v2, 9, 0x7c00
	v_lshl_or_b32 v4, v4, 9, 0x7c00
	s_or_b32 vcc_lo, s0, vcc_lo
	v_add_co_ci_u32_e32 v8, vcc_lo, 0, v8, vcc_lo
	s_or_b32 vcc_lo, s2, s1
	v_add_co_ci_u32_e32 v6, vcc_lo, 0, v6, vcc_lo
	v_cmp_gt_i32_e32 vcc_lo, 31, v7
	v_cndmask_b32_e32 v8, 0x7c00, v8, vcc_lo
	v_cmp_gt_i32_e32 vcc_lo, 31, v9
	v_cndmask_b32_e32 v6, 0x7c00, v6, vcc_lo
	v_cmp_eq_u32_e32 vcc_lo, 0x40f, v7
	v_cndmask_b32_e32 v2, v8, v2, vcc_lo
	v_cmp_eq_u32_e32 vcc_lo, 0x40f, v9
	v_and_or_b32 v2, 0x8000, v3, v2
	v_cndmask_b32_e32 v4, v6, v4, vcc_lo
	v_add_co_u32 v0, vcc_lo, v0, s4
	v_add_co_ci_u32_e32 v1, vcc_lo, s3, v1, vcc_lo
	v_and_or_b32 v3, 0x8000, v5, v4
	v_and_b32_e32 v2, 0xffff, v2
	v_lshl_or_b32 v2, v3, 16, v2
	global_store_dword v[0:1], v2, off
.LBB0_15:
	s_endpgm
	.section	.rodata,"a",@progbits
	.p2align	6, 0x0
	.amdhsa_kernel bluestein_single_back_len1275_dim1_half_op_CI_CI
		.amdhsa_group_segment_fixed_size 15300
		.amdhsa_private_segment_fixed_size 0
		.amdhsa_kernarg_size 104
		.amdhsa_user_sgpr_count 6
		.amdhsa_user_sgpr_private_segment_buffer 1
		.amdhsa_user_sgpr_dispatch_ptr 0
		.amdhsa_user_sgpr_queue_ptr 0
		.amdhsa_user_sgpr_kernarg_segment_ptr 1
		.amdhsa_user_sgpr_dispatch_id 0
		.amdhsa_user_sgpr_flat_scratch_init 0
		.amdhsa_user_sgpr_private_segment_size 0
		.amdhsa_wavefront_size32 1
		.amdhsa_uses_dynamic_stack 0
		.amdhsa_system_sgpr_private_segment_wavefront_offset 0
		.amdhsa_system_sgpr_workgroup_id_x 1
		.amdhsa_system_sgpr_workgroup_id_y 0
		.amdhsa_system_sgpr_workgroup_id_z 0
		.amdhsa_system_sgpr_workgroup_info 0
		.amdhsa_system_vgpr_workitem_id 0
		.amdhsa_next_free_vgpr 239
		.amdhsa_next_free_sgpr 16
		.amdhsa_reserve_vcc 1
		.amdhsa_reserve_flat_scratch 0
		.amdhsa_float_round_mode_32 0
		.amdhsa_float_round_mode_16_64 0
		.amdhsa_float_denorm_mode_32 3
		.amdhsa_float_denorm_mode_16_64 3
		.amdhsa_dx10_clamp 1
		.amdhsa_ieee_mode 1
		.amdhsa_fp16_overflow 0
		.amdhsa_workgroup_processor_mode 1
		.amdhsa_memory_ordered 1
		.amdhsa_forward_progress 0
		.amdhsa_shared_vgpr_count 0
		.amdhsa_exception_fp_ieee_invalid_op 0
		.amdhsa_exception_fp_denorm_src 0
		.amdhsa_exception_fp_ieee_div_zero 0
		.amdhsa_exception_fp_ieee_overflow 0
		.amdhsa_exception_fp_ieee_underflow 0
		.amdhsa_exception_fp_ieee_inexact 0
		.amdhsa_exception_int_div_zero 0
	.end_amdhsa_kernel
	.text
.Lfunc_end0:
	.size	bluestein_single_back_len1275_dim1_half_op_CI_CI, .Lfunc_end0-bluestein_single_back_len1275_dim1_half_op_CI_CI
                                        ; -- End function
	.section	.AMDGPU.csdata,"",@progbits
; Kernel info:
; codeLenInByte = 32772
; NumSgprs: 18
; NumVgprs: 239
; ScratchSize: 0
; MemoryBound: 0
; FloatMode: 240
; IeeeMode: 1
; LDSByteSize: 15300 bytes/workgroup (compile time only)
; SGPRBlocks: 2
; VGPRBlocks: 29
; NumSGPRsForWavesPerEU: 18
; NumVGPRsForWavesPerEU: 239
; Occupancy: 4
; WaveLimiterHint : 1
; COMPUTE_PGM_RSRC2:SCRATCH_EN: 0
; COMPUTE_PGM_RSRC2:USER_SGPR: 6
; COMPUTE_PGM_RSRC2:TRAP_HANDLER: 0
; COMPUTE_PGM_RSRC2:TGID_X_EN: 1
; COMPUTE_PGM_RSRC2:TGID_Y_EN: 0
; COMPUTE_PGM_RSRC2:TGID_Z_EN: 0
; COMPUTE_PGM_RSRC2:TIDIG_COMP_CNT: 0
	.text
	.p2alignl 6, 3214868480
	.fill 48, 4, 3214868480
	.type	__hip_cuid_bfa450886f5ae6b3,@object ; @__hip_cuid_bfa450886f5ae6b3
	.section	.bss,"aw",@nobits
	.globl	__hip_cuid_bfa450886f5ae6b3
__hip_cuid_bfa450886f5ae6b3:
	.byte	0                               ; 0x0
	.size	__hip_cuid_bfa450886f5ae6b3, 1

	.ident	"AMD clang version 19.0.0git (https://github.com/RadeonOpenCompute/llvm-project roc-6.4.0 25133 c7fe45cf4b819c5991fe208aaa96edf142730f1d)"
	.section	".note.GNU-stack","",@progbits
	.addrsig
	.addrsig_sym __hip_cuid_bfa450886f5ae6b3
	.amdgpu_metadata
---
amdhsa.kernels:
  - .args:
      - .actual_access:  read_only
        .address_space:  global
        .offset:         0
        .size:           8
        .value_kind:     global_buffer
      - .actual_access:  read_only
        .address_space:  global
        .offset:         8
        .size:           8
        .value_kind:     global_buffer
      - .actual_access:  read_only
        .address_space:  global
        .offset:         16
        .size:           8
        .value_kind:     global_buffer
      - .actual_access:  read_only
        .address_space:  global
        .offset:         24
        .size:           8
        .value_kind:     global_buffer
      - .actual_access:  read_only
        .address_space:  global
        .offset:         32
        .size:           8
        .value_kind:     global_buffer
      - .offset:         40
        .size:           8
        .value_kind:     by_value
      - .address_space:  global
        .offset:         48
        .size:           8
        .value_kind:     global_buffer
      - .address_space:  global
        .offset:         56
        .size:           8
        .value_kind:     global_buffer
      - .address_space:  global
        .offset:         64
        .size:           8
        .value_kind:     global_buffer
      - .address_space:  global
        .offset:         72
        .size:           8
        .value_kind:     global_buffer
      - .offset:         80
        .size:           4
        .value_kind:     by_value
      - .address_space:  global
        .offset:         88
        .size:           8
        .value_kind:     global_buffer
      - .address_space:  global
        .offset:         96
        .size:           8
        .value_kind:     global_buffer
    .group_segment_fixed_size: 15300
    .kernarg_segment_align: 8
    .kernarg_segment_size: 104
    .language:       OpenCL C
    .language_version:
      - 2
      - 0
    .max_flat_workgroup_size: 255
    .name:           bluestein_single_back_len1275_dim1_half_op_CI_CI
    .private_segment_fixed_size: 0
    .sgpr_count:     18
    .sgpr_spill_count: 0
    .symbol:         bluestein_single_back_len1275_dim1_half_op_CI_CI.kd
    .uniform_work_group_size: 1
    .uses_dynamic_stack: false
    .vgpr_count:     239
    .vgpr_spill_count: 0
    .wavefront_size: 32
    .workgroup_processor_mode: 1
amdhsa.target:   amdgcn-amd-amdhsa--gfx1030
amdhsa.version:
  - 1
  - 2
...

	.end_amdgpu_metadata
